;; amdgpu-corpus repo=ROCm/rocFFT kind=compiled arch=gfx1030 opt=O3
	.text
	.amdgcn_target "amdgcn-amd-amdhsa--gfx1030"
	.amdhsa_code_object_version 6
	.protected	fft_rtc_fwd_len1960_factors_4_7_2_7_5_wgs_56_tpt_56_halfLds_dp_op_CI_CI_sbrr_dirReg ; -- Begin function fft_rtc_fwd_len1960_factors_4_7_2_7_5_wgs_56_tpt_56_halfLds_dp_op_CI_CI_sbrr_dirReg
	.globl	fft_rtc_fwd_len1960_factors_4_7_2_7_5_wgs_56_tpt_56_halfLds_dp_op_CI_CI_sbrr_dirReg
	.p2align	8
	.type	fft_rtc_fwd_len1960_factors_4_7_2_7_5_wgs_56_tpt_56_halfLds_dp_op_CI_CI_sbrr_dirReg,@function
fft_rtc_fwd_len1960_factors_4_7_2_7_5_wgs_56_tpt_56_halfLds_dp_op_CI_CI_sbrr_dirReg: ; @fft_rtc_fwd_len1960_factors_4_7_2_7_5_wgs_56_tpt_56_halfLds_dp_op_CI_CI_sbrr_dirReg
; %bb.0:
	s_clause 0x2
	s_load_dwordx4 s[16:19], s[4:5], 0x18
	s_load_dwordx4 s[12:15], s[4:5], 0x0
	;; [unrolled: 1-line block ×3, first 2 shown]
	s_mov_b64 s[38:39], s[2:3]
	s_mov_b64 s[36:37], s[0:1]
	v_mul_u32_u24_e32 v1, 0x493, v0
	v_mov_b32_e32 v3, 0
	s_add_u32 s36, s36, s7
	s_addc_u32 s37, s37, 0
	s_waitcnt lgkmcnt(0)
	s_load_dwordx2 s[20:21], s[16:17], 0x0
	s_load_dwordx2 s[2:3], s[18:19], 0x0
	v_cmp_lt_u64_e64 s0, s[14:15], 2
	v_add_nc_u32_sdwa v5, s6, v1 dst_sel:DWORD dst_unused:UNUSED_PAD src0_sel:DWORD src1_sel:WORD_1
	v_mov_b32_e32 v1, 0
	v_mov_b32_e32 v6, v3
	;; [unrolled: 1-line block ×3, first 2 shown]
	s_and_b32 vcc_lo, exec_lo, s0
	s_cbranch_vccnz .LBB0_8
; %bb.1:
	s_load_dwordx2 s[0:1], s[4:5], 0x10
	v_mov_b32_e32 v1, 0
	v_mov_b32_e32 v2, 0
	s_add_u32 s6, s18, 8
	s_addc_u32 s7, s19, 0
	s_add_u32 s22, s16, 8
	s_addc_u32 s23, s17, 0
	v_mov_b32_e32 v177, v2
	v_mov_b32_e32 v176, v1
	s_mov_b64 s[26:27], 1
	s_waitcnt lgkmcnt(0)
	s_add_u32 s24, s0, 8
	s_addc_u32 s25, s1, 0
.LBB0_2:                                ; =>This Inner Loop Header: Depth=1
	s_load_dwordx2 s[28:29], s[24:25], 0x0
                                        ; implicit-def: $vgpr178_vgpr179
	s_mov_b32 s0, exec_lo
	s_waitcnt lgkmcnt(0)
	v_or_b32_e32 v4, s29, v6
	v_cmpx_ne_u64_e32 0, v[3:4]
	s_xor_b32 s1, exec_lo, s0
	s_cbranch_execz .LBB0_4
; %bb.3:                                ;   in Loop: Header=BB0_2 Depth=1
	v_cvt_f32_u32_e32 v4, s28
	v_cvt_f32_u32_e32 v7, s29
	s_sub_u32 s0, 0, s28
	s_subb_u32 s30, 0, s29
	v_fmac_f32_e32 v4, 0x4f800000, v7
	v_rcp_f32_e32 v4, v4
	v_mul_f32_e32 v4, 0x5f7ffffc, v4
	v_mul_f32_e32 v7, 0x2f800000, v4
	v_trunc_f32_e32 v7, v7
	v_fmac_f32_e32 v4, 0xcf800000, v7
	v_cvt_u32_f32_e32 v7, v7
	v_cvt_u32_f32_e32 v4, v4
	v_mul_lo_u32 v8, s0, v7
	v_mul_hi_u32 v9, s0, v4
	v_mul_lo_u32 v10, s30, v4
	v_add_nc_u32_e32 v8, v9, v8
	v_mul_lo_u32 v9, s0, v4
	v_add_nc_u32_e32 v8, v8, v10
	v_mul_hi_u32 v10, v4, v9
	v_mul_lo_u32 v11, v4, v8
	v_mul_hi_u32 v12, v4, v8
	v_mul_hi_u32 v13, v7, v9
	v_mul_lo_u32 v9, v7, v9
	v_mul_hi_u32 v14, v7, v8
	v_mul_lo_u32 v8, v7, v8
	v_add_co_u32 v10, vcc_lo, v10, v11
	v_add_co_ci_u32_e32 v11, vcc_lo, 0, v12, vcc_lo
	v_add_co_u32 v9, vcc_lo, v10, v9
	v_add_co_ci_u32_e32 v9, vcc_lo, v11, v13, vcc_lo
	v_add_co_ci_u32_e32 v10, vcc_lo, 0, v14, vcc_lo
	v_add_co_u32 v8, vcc_lo, v9, v8
	v_add_co_ci_u32_e32 v9, vcc_lo, 0, v10, vcc_lo
	v_add_co_u32 v4, vcc_lo, v4, v8
	v_add_co_ci_u32_e32 v7, vcc_lo, v7, v9, vcc_lo
	v_mul_hi_u32 v8, s0, v4
	v_mul_lo_u32 v10, s30, v4
	v_mul_lo_u32 v9, s0, v7
	v_add_nc_u32_e32 v8, v8, v9
	v_mul_lo_u32 v9, s0, v4
	v_add_nc_u32_e32 v8, v8, v10
	v_mul_hi_u32 v10, v4, v9
	v_mul_lo_u32 v11, v4, v8
	v_mul_hi_u32 v12, v4, v8
	v_mul_hi_u32 v13, v7, v9
	v_mul_lo_u32 v9, v7, v9
	v_mul_hi_u32 v14, v7, v8
	v_mul_lo_u32 v8, v7, v8
	v_add_co_u32 v10, vcc_lo, v10, v11
	v_add_co_ci_u32_e32 v11, vcc_lo, 0, v12, vcc_lo
	v_add_co_u32 v9, vcc_lo, v10, v9
	v_add_co_ci_u32_e32 v9, vcc_lo, v11, v13, vcc_lo
	v_add_co_ci_u32_e32 v10, vcc_lo, 0, v14, vcc_lo
	v_add_co_u32 v8, vcc_lo, v9, v8
	v_add_co_ci_u32_e32 v9, vcc_lo, 0, v10, vcc_lo
	v_add_co_u32 v4, vcc_lo, v4, v8
	v_add_co_ci_u32_e32 v11, vcc_lo, v7, v9, vcc_lo
	v_mul_hi_u32 v13, v5, v4
	v_mad_u64_u32 v[9:10], null, v6, v4, 0
	v_mad_u64_u32 v[7:8], null, v5, v11, 0
	;; [unrolled: 1-line block ×3, first 2 shown]
	v_add_co_u32 v4, vcc_lo, v13, v7
	v_add_co_ci_u32_e32 v7, vcc_lo, 0, v8, vcc_lo
	v_add_co_u32 v4, vcc_lo, v4, v9
	v_add_co_ci_u32_e32 v4, vcc_lo, v7, v10, vcc_lo
	v_add_co_ci_u32_e32 v7, vcc_lo, 0, v12, vcc_lo
	v_add_co_u32 v4, vcc_lo, v4, v11
	v_add_co_ci_u32_e32 v9, vcc_lo, 0, v7, vcc_lo
	v_mul_lo_u32 v10, s29, v4
	v_mad_u64_u32 v[7:8], null, s28, v4, 0
	v_mul_lo_u32 v11, s28, v9
	v_sub_co_u32 v7, vcc_lo, v5, v7
	v_add3_u32 v8, v8, v11, v10
	v_sub_nc_u32_e32 v10, v6, v8
	v_subrev_co_ci_u32_e64 v10, s0, s29, v10, vcc_lo
	v_add_co_u32 v11, s0, v4, 2
	v_add_co_ci_u32_e64 v12, s0, 0, v9, s0
	v_sub_co_u32 v13, s0, v7, s28
	v_sub_co_ci_u32_e32 v8, vcc_lo, v6, v8, vcc_lo
	v_subrev_co_ci_u32_e64 v10, s0, 0, v10, s0
	v_cmp_le_u32_e32 vcc_lo, s28, v13
	v_cmp_eq_u32_e64 s0, s29, v8
	v_cndmask_b32_e64 v13, 0, -1, vcc_lo
	v_cmp_le_u32_e32 vcc_lo, s29, v10
	v_cndmask_b32_e64 v14, 0, -1, vcc_lo
	v_cmp_le_u32_e32 vcc_lo, s28, v7
	;; [unrolled: 2-line block ×3, first 2 shown]
	v_cndmask_b32_e64 v15, 0, -1, vcc_lo
	v_cmp_eq_u32_e32 vcc_lo, s29, v10
	v_cndmask_b32_e64 v7, v15, v7, s0
	v_cndmask_b32_e32 v10, v14, v13, vcc_lo
	v_add_co_u32 v13, vcc_lo, v4, 1
	v_add_co_ci_u32_e32 v14, vcc_lo, 0, v9, vcc_lo
	v_cmp_ne_u32_e32 vcc_lo, 0, v10
	v_cndmask_b32_e32 v8, v14, v12, vcc_lo
	v_cndmask_b32_e32 v10, v13, v11, vcc_lo
	v_cmp_ne_u32_e32 vcc_lo, 0, v7
	v_cndmask_b32_e32 v179, v9, v8, vcc_lo
	v_cndmask_b32_e32 v178, v4, v10, vcc_lo
.LBB0_4:                                ;   in Loop: Header=BB0_2 Depth=1
	s_andn2_saveexec_b32 s0, s1
	s_cbranch_execz .LBB0_6
; %bb.5:                                ;   in Loop: Header=BB0_2 Depth=1
	v_cvt_f32_u32_e32 v4, s28
	s_sub_i32 s1, 0, s28
	v_mov_b32_e32 v179, v3
	v_rcp_iflag_f32_e32 v4, v4
	v_mul_f32_e32 v4, 0x4f7ffffe, v4
	v_cvt_u32_f32_e32 v4, v4
	v_mul_lo_u32 v7, s1, v4
	v_mul_hi_u32 v7, v4, v7
	v_add_nc_u32_e32 v4, v4, v7
	v_mul_hi_u32 v4, v5, v4
	v_mul_lo_u32 v7, v4, s28
	v_add_nc_u32_e32 v8, 1, v4
	v_sub_nc_u32_e32 v7, v5, v7
	v_subrev_nc_u32_e32 v9, s28, v7
	v_cmp_le_u32_e32 vcc_lo, s28, v7
	v_cndmask_b32_e32 v7, v7, v9, vcc_lo
	v_cndmask_b32_e32 v4, v4, v8, vcc_lo
	v_cmp_le_u32_e32 vcc_lo, s28, v7
	v_add_nc_u32_e32 v8, 1, v4
	v_cndmask_b32_e32 v178, v4, v8, vcc_lo
.LBB0_6:                                ;   in Loop: Header=BB0_2 Depth=1
	s_or_b32 exec_lo, exec_lo, s0
	v_mul_lo_u32 v4, v179, s28
	v_mul_lo_u32 v9, v178, s29
	s_load_dwordx2 s[0:1], s[22:23], 0x0
	v_mad_u64_u32 v[7:8], null, v178, s28, 0
	s_load_dwordx2 s[28:29], s[6:7], 0x0
	s_add_u32 s26, s26, 1
	s_addc_u32 s27, s27, 0
	s_add_u32 s6, s6, 8
	s_addc_u32 s7, s7, 0
	s_add_u32 s22, s22, 8
	v_add3_u32 v4, v8, v9, v4
	v_sub_co_u32 v5, vcc_lo, v5, v7
	s_addc_u32 s23, s23, 0
	s_add_u32 s24, s24, 8
	v_sub_co_ci_u32_e32 v4, vcc_lo, v6, v4, vcc_lo
	s_addc_u32 s25, s25, 0
	s_waitcnt lgkmcnt(0)
	v_mul_lo_u32 v6, s0, v4
	v_mul_lo_u32 v7, s1, v5
	v_mad_u64_u32 v[1:2], null, s0, v5, v[1:2]
	v_mul_lo_u32 v4, s28, v4
	v_mul_lo_u32 v8, s29, v5
	v_mad_u64_u32 v[176:177], null, s28, v5, v[176:177]
	v_cmp_ge_u64_e64 s0, s[26:27], s[14:15]
	v_add3_u32 v2, v7, v2, v6
	v_add3_u32 v177, v8, v177, v4
	s_and_b32 vcc_lo, exec_lo, s0
	s_cbranch_vccnz .LBB0_9
; %bb.7:                                ;   in Loop: Header=BB0_2 Depth=1
	v_mov_b32_e32 v5, v178
	v_mov_b32_e32 v6, v179
	s_branch .LBB0_2
.LBB0_8:
	v_mov_b32_e32 v177, v2
	v_mov_b32_e32 v179, v6
	;; [unrolled: 1-line block ×4, first 2 shown]
.LBB0_9:
	s_load_dwordx2 s[0:1], s[4:5], 0x28
	v_mul_hi_u32 v3, 0x4924925, v0
	s_lshl_b64 s[6:7], s[14:15], 3
                                        ; implicit-def: $vgpr226
                                        ; implicit-def: $vgpr188
                                        ; implicit-def: $vgpr189
                                        ; implicit-def: $vgpr190
                                        ; implicit-def: $vgpr191
                                        ; implicit-def: $vgpr4
                                        ; kill: killed $vgpr4
                                        ; implicit-def: $vgpr192
                                        ; implicit-def: $vgpr193
                                        ; implicit-def: $vgpr194
	s_add_u32 s4, s18, s6
	s_addc_u32 s5, s19, s7
	s_waitcnt lgkmcnt(0)
	v_cmp_gt_u64_e32 vcc_lo, s[0:1], v[178:179]
	v_cmp_le_u64_e64 s0, s[0:1], v[178:179]
	s_and_saveexec_b32 s1, s0
	s_xor_b32 s0, exec_lo, s1
	s_cbranch_execz .LBB0_11
; %bb.10:
	v_mul_u32_u24_e32 v1, 56, v3
                                        ; implicit-def: $vgpr3
	v_sub_nc_u32_e32 v226, v0, v1
                                        ; implicit-def: $vgpr1_vgpr2
	v_add_nc_u32_e32 v188, 56, v226
	v_add_nc_u32_e32 v189, 0x70, v226
	;; [unrolled: 1-line block ×7, first 2 shown]
	v_or_b32_e32 v194, 0x1c0, v226
	buffer_store_dword v0, off, s[36:39], 0 offset:8 ; 4-byte Folded Spill
                                        ; implicit-def: $vgpr0
.LBB0_11:
	s_or_saveexec_b32 s1, s0
	s_load_dwordx2 s[4:5], s[4:5], 0x0
                                        ; implicit-def: $vgpr4_vgpr5
                                        ; implicit-def: $vgpr12_vgpr13
                                        ; implicit-def: $vgpr28_vgpr29
                                        ; implicit-def: $vgpr108_vgpr109
                                        ; implicit-def: $vgpr36_vgpr37
                                        ; implicit-def: $vgpr104_vgpr105
                                        ; implicit-def: $vgpr40_vgpr41
                                        ; implicit-def: $vgpr100_vgpr101
                                        ; implicit-def: $vgpr44_vgpr45
                                        ; implicit-def: $vgpr96_vgpr97
                                        ; implicit-def: $vgpr48_vgpr49
                                        ; implicit-def: $vgpr92_vgpr93
                                        ; implicit-def: $vgpr68_vgpr69
                                        ; implicit-def: $vgpr88_vgpr89
                                        ; implicit-def: $vgpr80_vgpr81
                                        ; implicit-def: $vgpr84_vgpr85
                                        ; implicit-def: $vgpr24_vgpr25
                                        ; implicit-def: $vgpr112_vgpr113
                                        ; implicit-def: $vgpr144_vgpr145
                                        ; implicit-def: $vgpr20_vgpr21
                                        ; implicit-def: $vgpr116_vgpr117
                                        ; implicit-def: $vgpr76_vgpr77
                                        ; implicit-def: $vgpr120_vgpr121
                                        ; implicit-def: $vgpr72_vgpr73
                                        ; implicit-def: $vgpr124_vgpr125
                                        ; implicit-def: $vgpr64_vgpr65
                                        ; implicit-def: $vgpr128_vgpr129
                                        ; implicit-def: $vgpr60_vgpr61
                                        ; implicit-def: $vgpr132_vgpr133
                                        ; implicit-def: $vgpr56_vgpr57
                                        ; implicit-def: $vgpr140_vgpr141
                                        ; implicit-def: $vgpr52_vgpr53
                                        ; implicit-def: $vgpr136_vgpr137
                                        ; implicit-def: $vgpr32_vgpr33
                                        ; implicit-def: $vgpr16_vgpr17
                                        ; implicit-def: $vgpr8_vgpr9
	s_xor_b32 exec_lo, exec_lo, s1
	s_cbranch_execz .LBB0_15
; %bb.12:
	s_add_u32 s6, s16, s6
	s_addc_u32 s7, s17, s7
	v_mul_u32_u24_e32 v3, 56, v3
	s_load_dwordx2 s[6:7], s[6:7], 0x0
                                        ; implicit-def: $vgpr142_vgpr143
	v_sub_nc_u32_e32 v226, v0, v3
	v_lshlrev_b64 v[0:1], 4, v[1:2]
	v_add_nc_u32_e32 v14, 0x1ea, v226
	v_add_nc_u32_e32 v15, 0x3d4, v226
	v_mad_u64_u32 v[2:3], null, s20, v226, 0
	v_add_nc_u32_e32 v16, 0x5be, v226
	v_mad_u64_u32 v[4:5], null, s20, v14, 0
	v_mad_u64_u32 v[6:7], null, s20, v15, 0
	;; [unrolled: 1-line block ×3, first 2 shown]
	s_waitcnt lgkmcnt(0)
	v_mul_lo_u32 v17, s7, v178
	v_mul_lo_u32 v20, s6, v179
	v_mad_u64_u32 v[8:9], null, s6, v178, 0
	v_mad_u64_u32 v[12:13], null, s21, v226, v[3:4]
	v_mov_b32_e32 v3, v5
	v_mov_b32_e32 v5, v7
	;; [unrolled: 1-line block ×3, first 2 shown]
	v_add_nc_u32_e32 v188, 56, v226
	v_add3_u32 v9, v9, v20, v17
	v_mad_u64_u32 v[13:14], null, s21, v14, v[3:4]
	v_mov_b32_e32 v3, v12
	v_mad_u64_u32 v[11:12], null, s21, v15, v[5:6]
	v_lshlrev_b64 v[8:9], 4, v[8:9]
	v_mad_u64_u32 v[18:19], null, s20, v188, 0
	v_add_nc_u32_e32 v12, 0x222, v226
	v_mov_b32_e32 v5, v13
	v_lshlrev_b64 v[2:3], 4, v[2:3]
	v_mad_u64_u32 v[14:15], null, s21, v16, v[7:8]
	v_add_co_u32 v7, s0, s8, v8
	v_add_co_ci_u32_e64 v8, s0, s9, v9, s0
	v_mad_u64_u32 v[22:23], null, s20, v12, 0
	v_add_co_u32 v20, s0, v7, v0
	v_mov_b32_e32 v7, v11
	v_add_co_ci_u32_e64 v21, s0, v8, v1, s0
	v_lshlrev_b64 v[0:1], 4, v[4:5]
	v_mov_b32_e32 v11, v14
	v_lshlrev_b64 v[5:6], 4, v[6:7]
	v_mov_b32_e32 v4, v19
	v_add_co_u32 v2, s0, v20, v2
	v_lshlrev_b64 v[7:8], 4, v[10:11]
	v_add_nc_u32_e32 v28, 0x40c, v226
	v_mad_u64_u32 v[9:10], null, s21, v188, v[4:5]
	v_mov_b32_e32 v4, v23
	v_add_co_ci_u32_e64 v3, s0, v21, v3, s0
	v_add_co_u32 v0, s0, v20, v0
	v_add_co_ci_u32_e64 v1, s0, v21, v1, s0
	v_mad_u64_u32 v[24:25], null, s20, v28, 0
	v_mad_u64_u32 v[26:27], null, s21, v12, v[4:5]
	v_add_co_u32 v10, s0, v20, v5
	v_add_co_ci_u32_e64 v11, s0, v21, v6, s0
	v_mov_b32_e32 v19, v9
	v_add_nc_u32_e32 v30, 0x5f6, v226
	v_add_co_u32 v14, s0, v20, v7
	v_add_co_ci_u32_e64 v15, s0, v21, v8, s0
	s_clause 0x3
	global_load_dwordx4 v[6:9], v[2:3], off
	global_load_dwordx4 v[2:5], v[0:1], off
	;; [unrolled: 1-line block ×4, first 2 shown]
	v_lshlrev_b64 v[0:1], 4, v[18:19]
	v_mov_b32_e32 v18, v25
	v_mov_b32_e32 v23, v26
	v_mad_u64_u32 v[26:27], null, s20, v30, 0
	v_add_nc_u32_e32 v189, 0x70, v226
	v_mad_u64_u32 v[18:19], null, s21, v28, v[18:19]
	v_add_nc_u32_e32 v34, 0x25a, v226
	v_lshlrev_b64 v[22:23], 4, v[22:23]
	v_mad_u64_u32 v[28:29], null, s20, v189, 0
	v_mov_b32_e32 v19, v27
	v_add_co_u32 v0, s0, v20, v0
	v_mov_b32_e32 v25, v18
	v_add_co_ci_u32_e64 v1, s0, v21, v1, s0
	v_mad_u64_u32 v[18:19], null, s21, v30, v[19:20]
	v_mov_b32_e32 v19, v29
	v_lshlrev_b64 v[24:25], 4, v[24:25]
	v_mad_u64_u32 v[30:31], null, s20, v34, 0
	v_add_co_u32 v22, s0, v20, v22
	v_mov_b32_e32 v27, v18
	v_mad_u64_u32 v[32:33], null, s21, v189, v[19:20]
	v_add_co_ci_u32_e64 v23, s0, v21, v23, s0
	v_add_co_u32 v18, s0, v20, v24
	v_add_nc_u32_e32 v36, 0x444, v226
	v_add_co_ci_u32_e64 v19, s0, v21, v25, s0
	v_lshlrev_b64 v[24:25], 4, v[26:27]
	v_mov_b32_e32 v26, v31
	v_mov_b32_e32 v29, v32
	v_mad_u64_u32 v[32:33], null, s20, v36, 0
	v_add_nc_u32_e32 v39, 0x62e, v226
	v_mad_u64_u32 v[26:27], null, s21, v34, v[26:27]
	v_lshlrev_b64 v[27:28], 4, v[28:29]
	v_add_nc_u32_e32 v190, 0xa8, v226
	v_mad_u64_u32 v[34:35], null, s20, v39, 0
	v_mov_b32_e32 v29, v33
	v_add_co_u32 v24, s0, v20, v24
	v_mov_b32_e32 v31, v26
	v_add_co_ci_u32_e64 v25, s0, v21, v25, s0
	v_mad_u64_u32 v[36:37], null, s21, v36, v[29:30]
	v_add_co_u32 v37, s0, v20, v27
	v_lshlrev_b64 v[26:27], 4, v[30:31]
	v_mad_u64_u32 v[29:30], null, s20, v190, 0
	v_add_co_ci_u32_e64 v38, s0, v21, v28, s0
	v_mov_b32_e32 v28, v35
	v_mov_b32_e32 v33, v36
	v_add_nc_u32_e32 v46, 0x47c, v226
	v_add_nc_u32_e32 v191, 0xe0, v226
	;; [unrolled: 1-line block ×3, first 2 shown]
	v_mad_u64_u32 v[35:36], null, s21, v39, v[28:29]
	v_add_nc_u32_e32 v36, 0x292, v226
	v_add_co_u32 v39, s0, v20, v26
	v_add_co_ci_u32_e64 v40, s0, v21, v27, s0
	v_lshlrev_b64 v[26:27], 4, v[32:33]
	v_mad_u64_u32 v[31:32], null, s20, v36, 0
	v_mov_b32_e32 v28, v30
	buffer_store_dword v50, off, s[36:39], 0 offset:8 ; 4-byte Folded Spill
	v_add_nc_u32_e32 v192, 0x150, v226
	v_add_nc_u32_e32 v193, 0x188, v226
	v_or_b32_e32 v194, 0x1c0, v226
	v_mad_u64_u32 v[41:42], null, s21, v190, v[28:29]
	v_mov_b32_e32 v28, v32
	v_add_co_u32 v42, s0, v20, v26
	v_add_co_ci_u32_e64 v43, s0, v21, v27, s0
	v_lshlrev_b64 v[26:27], 4, v[34:35]
	v_mad_u64_u32 v[35:36], null, s21, v36, v[28:29]
	v_mov_b32_e32 v30, v41
	v_mad_u64_u32 v[33:34], null, s20, v46, 0
	v_add_nc_u32_e32 v36, 0x666, v226
	v_add_co_u32 v44, s0, v20, v26
	v_add_co_ci_u32_e64 v45, s0, v21, v27, s0
	v_lshlrev_b64 v[26:27], 4, v[29:30]
	v_mad_u64_u32 v[29:30], null, s20, v36, 0
	v_mov_b32_e32 v28, v34
	v_mov_b32_e32 v32, v35
	v_add_nc_u32_e32 v41, 0x2ca, v226
	s_mov_b32 s6, exec_lo
	v_mad_u64_u32 v[34:35], null, s21, v46, v[28:29]
	v_add_co_u32 v46, s0, v20, v26
	v_add_co_ci_u32_e64 v47, s0, v21, v27, s0
	v_lshlrev_b64 v[26:27], 4, v[31:32]
	v_mov_b32_e32 v28, v30
	v_mad_u64_u32 v[31:32], null, s20, v191, 0
	v_mad_u64_u32 v[35:36], null, s21, v36, v[28:29]
	v_add_co_u32 v48, s0, v20, v26
	v_mov_b32_e32 v28, v32
	v_add_co_ci_u32_e64 v49, s0, v21, v27, s0
	v_lshlrev_b64 v[26:27], 4, v[33:34]
	v_mov_b32_e32 v30, v35
	v_mad_u64_u32 v[35:36], null, s21, v191, v[28:29]
	v_mad_u64_u32 v[33:34], null, s20, v41, 0
	v_add_nc_u32_e32 v36, 0x4b4, v226
	v_add_co_u32 v58, s0, v20, v26
	v_add_co_ci_u32_e64 v59, s0, v21, v27, s0
	v_lshlrev_b64 v[26:27], 4, v[29:30]
	v_mad_u64_u32 v[29:30], null, s20, v36, 0
	v_mov_b32_e32 v28, v34
	v_mov_b32_e32 v32, v35
	v_add_co_u32 v60, s0, v20, v26
	v_add_co_ci_u32_e64 v61, s0, v21, v27, s0
	v_mad_u64_u32 v[34:35], null, s21, v41, v[28:29]
	v_add_nc_u32_e32 v41, 0x69e, v226
	v_lshlrev_b64 v[26:27], 4, v[31:32]
	v_mov_b32_e32 v28, v30
	v_mad_u64_u32 v[31:32], null, s20, v41, 0
	v_mad_u64_u32 v[35:36], null, s21, v36, v[28:29]
	v_add_co_u32 v62, s0, v20, v26
	v_add_co_ci_u32_e64 v63, s0, v21, v27, s0
	v_mov_b32_e32 v28, v32
	v_lshlrev_b64 v[26:27], 4, v[33:34]
	v_mov_b32_e32 v30, v35
	v_mad_u64_u32 v[33:34], null, s20, v50, 0
	v_mad_u64_u32 v[35:36], null, s21, v41, v[28:29]
	v_add_nc_u32_e32 v36, 0x302, v226
	v_add_co_u32 v64, s0, v20, v26
	v_add_co_ci_u32_e64 v65, s0, v21, v27, s0
	v_lshlrev_b64 v[26:27], 4, v[29:30]
	v_mad_u64_u32 v[29:30], null, s20, v36, 0
	v_mov_b32_e32 v28, v34
	v_mov_b32_e32 v32, v35
	v_add_nc_u32_e32 v41, 0x4ec, v226
	v_add_co_u32 v66, s0, v20, v26
	v_add_co_ci_u32_e64 v67, s0, v21, v27, s0
	v_mad_u64_u32 v[34:35], null, s21, v50, v[28:29]
	v_lshlrev_b64 v[26:27], 4, v[31:32]
	v_mov_b32_e32 v28, v30
	v_mad_u64_u32 v[31:32], null, s20, v41, 0
	v_add_nc_u32_e32 v50, 0x6d6, v226
	v_mad_u64_u32 v[35:36], null, s21, v36, v[28:29]
	v_add_co_u32 v68, s0, v20, v26
	v_mov_b32_e32 v28, v32
	v_add_co_ci_u32_e64 v69, s0, v21, v27, s0
	v_lshlrev_b64 v[26:27], 4, v[33:34]
	v_mov_b32_e32 v30, v35
	v_mad_u64_u32 v[33:34], null, s20, v50, 0
	v_mad_u64_u32 v[35:36], null, s21, v41, v[28:29]
	v_add_co_u32 v70, s0, v20, v26
	v_add_co_ci_u32_e64 v71, s0, v21, v27, s0
	v_lshlrev_b64 v[26:27], 4, v[29:30]
	v_mad_u64_u32 v[29:30], null, s20, v192, 0
	v_mov_b32_e32 v28, v34
	v_mov_b32_e32 v32, v35
	v_add_nc_u32_e32 v41, 0x33a, v226
	v_add_co_u32 v72, s0, v20, v26
	v_add_co_ci_u32_e64 v73, s0, v21, v27, s0
	v_mad_u64_u32 v[34:35], null, s21, v50, v[28:29]
	v_lshlrev_b64 v[26:27], 4, v[31:32]
	v_mov_b32_e32 v28, v30
	v_mad_u64_u32 v[31:32], null, s20, v41, 0
	v_add_nc_u32_e32 v50, 0x524, v226
	v_mad_u64_u32 v[35:36], null, s21, v192, v[28:29]
	v_add_co_u32 v74, s0, v20, v26
	v_mov_b32_e32 v28, v32
	v_add_co_ci_u32_e64 v75, s0, v21, v27, s0
	v_lshlrev_b64 v[26:27], 4, v[33:34]
	v_mov_b32_e32 v30, v35
	v_mad_u64_u32 v[35:36], null, s21, v41, v[28:29]
	v_mad_u64_u32 v[33:34], null, s20, v50, 0
	v_add_nc_u32_e32 v36, 0x70e, v226
	v_add_co_u32 v76, s0, v20, v26
	v_add_co_ci_u32_e64 v77, s0, v21, v27, s0
	v_lshlrev_b64 v[26:27], 4, v[29:30]
	v_mad_u64_u32 v[29:30], null, s20, v36, 0
	v_mov_b32_e32 v28, v34
	v_mov_b32_e32 v32, v35
	v_add_nc_u32_e32 v41, 0x746, v226
	v_add_co_u32 v78, s0, v20, v26
	v_add_co_ci_u32_e64 v79, s0, v21, v27, s0
	v_mad_u64_u32 v[34:35], null, s21, v50, v[28:29]
	v_lshlrev_b64 v[26:27], 4, v[31:32]
	v_mov_b32_e32 v28, v30
	v_mad_u64_u32 v[31:32], null, s20, v193, 0
	v_mad_u64_u32 v[52:53], null, s20, v41, 0
	;; [unrolled: 1-line block ×3, first 2 shown]
	v_add_co_u32 v80, s0, v20, v26
	v_add_co_ci_u32_e64 v81, s0, v21, v27, s0
	v_lshlrev_b64 v[27:28], 4, v[33:34]
	v_mov_b32_e32 v26, v32
	v_add_nc_u32_e32 v36, 0x372, v226
	v_mov_b32_e32 v30, v35
	v_mad_u64_u32 v[32:33], null, s21, v193, v[26:27]
	v_mad_u64_u32 v[34:35], null, s20, v36, 0
	v_add_nc_u32_e32 v33, 0x55c, v226
	v_add_co_u32 v82, s0, v20, v27
	v_add_co_ci_u32_e64 v83, s0, v21, v28, s0
	v_mad_u64_u32 v[50:51], null, s20, v33, 0
	v_mov_b32_e32 v28, v35
	v_lshlrev_b64 v[26:27], 4, v[29:30]
	v_mad_u64_u32 v[28:29], null, s21, v36, v[28:29]
	v_mov_b32_e32 v29, v51
	v_add_co_u32 v84, s0, v20, v26
	v_mov_b32_e32 v26, v53
	v_add_co_ci_u32_e64 v85, s0, v21, v27, s0
	v_mad_u64_u32 v[53:54], null, s21, v33, v[29:30]
	v_mad_u64_u32 v[56:57], null, s21, v41, v[26:27]
	v_mov_b32_e32 v35, v28
	v_lshlrev_b64 v[54:55], 4, v[31:32]
	s_clause 0x1
	global_load_dwordx4 v[30:33], v[0:1], off
	global_load_dwordx4 v[26:29], v[22:23], off
	v_mov_b32_e32 v51, v53
	v_lshlrev_b64 v[0:1], 4, v[34:35]
	v_mov_b32_e32 v53, v56
	v_add_co_u32 v22, s0, v20, v54
	v_lshlrev_b64 v[34:35], 4, v[50:51]
	v_add_co_ci_u32_e64 v23, s0, v21, v55, s0
	v_add_co_u32 v0, s0, v20, v0
	v_lshlrev_b64 v[50:51], 4, v[52:53]
	v_add_co_ci_u32_e64 v1, s0, v21, v1, s0
	v_add_co_u32 v110, s0, v20, v34
	v_add_co_ci_u32_e64 v111, s0, v21, v35, s0
	v_add_co_u32 v112, s0, v20, v50
	v_add_co_ci_u32_e64 v113, s0, v21, v51, s0
	s_clause 0x19
	global_load_dwordx4 v[106:109], v[18:19], off
	global_load_dwordx4 v[134:137], v[24:25], off
	;; [unrolled: 1-line block ×26, first 2 shown]
                                        ; implicit-def: $vgpr18_vgpr19
                                        ; implicit-def: $vgpr110_vgpr111
                                        ; implicit-def: $vgpr22_vgpr23
	v_cmpx_gt_u32_e32 0x1ea, v194
	s_cbranch_execz .LBB0_14
; %bb.13:
	v_add_nc_u32_e32 v112, 0x3aa, v226
	v_add_nc_u32_e32 v113, 0x594, v226
	v_mad_u64_u32 v[0:1], null, s20, v194, 0
	v_add_nc_u32_e32 v142, 0x77e, v226
	v_mad_u64_u32 v[18:19], null, s20, v112, 0
	v_mad_u64_u32 v[22:23], null, s20, v113, 0
	v_mad_u64_u32 v[24:25], null, s20, v142, 0
	s_waitcnt vmcnt(30)
	v_mad_u64_u32 v[110:111], null, s21, v194, v[1:2]
	v_mad_u64_u32 v[111:112], null, s21, v112, v[19:20]
	v_mov_b32_e32 v1, v23
	v_mov_b32_e32 v23, v25
	v_mad_u64_u32 v[112:113], null, s21, v113, v[1:2]
	v_mov_b32_e32 v1, v110
	v_mad_u64_u32 v[142:143], null, s21, v142, v[23:24]
	v_mov_b32_e32 v19, v111
	v_lshlrev_b64 v[0:1], 4, v[0:1]
	v_mov_b32_e32 v23, v112
	v_lshlrev_b64 v[18:19], 4, v[18:19]
	v_mov_b32_e32 v25, v142
	v_add_co_u32 v0, s0, v20, v0
	v_lshlrev_b64 v[22:23], 4, v[22:23]
	v_add_co_ci_u32_e64 v1, s0, v21, v1, s0
	v_add_co_u32 v110, s0, v20, v18
	v_add_co_ci_u32_e64 v111, s0, v21, v19, s0
	v_lshlrev_b64 v[18:19], 4, v[24:25]
	v_add_co_u32 v112, s0, v20, v22
	v_add_co_ci_u32_e64 v113, s0, v21, v23, s0
	v_add_co_u32 v142, s0, v20, v18
	v_add_co_ci_u32_e64 v143, s0, v21, v19, s0
	s_clause 0x3
	global_load_dwordx4 v[18:21], v[0:1], off
	global_load_dwordx4 v[22:25], v[110:111], off
	;; [unrolled: 1-line block ×4, first 2 shown]
.LBB0_14:
	s_or_b32 exec_lo, exec_lo, s6
.LBB0_15:
	s_or_b32 exec_lo, exec_lo, s1
	s_waitcnt vmcnt(29)
	v_add_f64 v[150:151], v[6:7], -v[10:11]
	s_waitcnt vmcnt(28)
	v_add_f64 v[10:11], v[2:3], -v[14:15]
	;; [unrolled: 2-line block ×7, first 2 shown]
	v_add_f64 v[154:155], v[30:31], -v[106:107]
	v_add_f64 v[14:15], v[26:27], -v[134:135]
	;; [unrolled: 1-line block ×12, first 2 shown]
	v_cmp_gt_u32_e64 s0, 42, v226
	v_fma_f64 v[164:165], v[6:7], 2.0, -v[150:151]
	v_fma_f64 v[0:1], v[2:3], 2.0, -v[10:11]
	;; [unrolled: 1-line block ×9, first 2 shown]
	v_add_f64 v[2:3], v[150:151], -v[106:107]
	v_lshl_add_u32 v79, v226, 5, 0
	v_fma_f64 v[122:123], v[34:35], 2.0, -v[102:103]
	v_add_f64 v[34:35], v[68:69], -v[120:121]
	v_add_f64 v[120:121], v[154:155], -v[86:87]
	;; [unrolled: 1-line block ×3, first 2 shown]
	v_fma_f64 v[126:127], v[38:39], 2.0, -v[98:99]
	v_add_f64 v[38:39], v[80:81], -v[116:117]
	v_lshl_add_u32 v117, v188, 5, 0
	v_fma_f64 v[66:67], v[66:67], 2.0, -v[16:17]
	v_fma_f64 v[50:51], v[50:51], 2.0, -v[158:159]
	v_add_f64 v[6:7], v[40:41], -v[132:133]
	v_fma_f64 v[54:55], v[54:55], 2.0, -v[162:163]
	v_add_f64 v[26:27], v[44:45], -v[128:129]
	v_add_f64 v[0:1], v[164:165], -v[0:1]
	v_fma_f64 v[58:59], v[58:59], 2.0, -v[166:167]
	v_add_f64 v[134:135], v[62:63], -v[46:47]
	;; [unrolled: 3-line block ×3, first 2 shown]
	v_add_f64 v[70:71], v[24:25], -v[144:145]
	v_add_f64 v[118:119], v[168:169], -v[118:119]
	v_fma_f64 v[152:153], v[150:151], 2.0, -v[2:3]
	v_add_f64 v[124:125], v[158:159], -v[114:115]
	v_lshl_add_u32 v116, v189, 5, 0
	v_add_f64 v[140:141], v[174:175], -v[34:35]
	v_fma_f64 v[156:157], v[154:155], 2.0, -v[120:121]
	v_add_f64 v[136:137], v[170:171], -v[30:31]
	v_lshl_add_u32 v111, v191, 5, 0
	v_add_f64 v[148:149], v[186:187], -v[38:39]
	v_lshl_add_u32 v78, v193, 5, 0
	v_add_f64 v[138:139], v[180:181], -v[66:67]
	v_add_f64 v[122:123], v[50:51], -v[122:123]
	;; [unrolled: 1-line block ×5, first 2 shown]
	ds_write_b128 v79, v[0:3] offset:16
	v_fma_f64 v[150:151], v[164:165], 2.0, -v[0:1]
	v_add_f64 v[130:131], v[58:59], -v[42:43]
	v_add_f64 v[42:43], v[22:23], -v[142:143]
	;; [unrolled: 1-line block ×3, first 2 shown]
	ds_write_b128 v117, v[118:121] offset:16
	v_fma_f64 v[184:185], v[74:75], 2.0, -v[146:147]
	v_fma_f64 v[154:155], v[168:169], 2.0, -v[118:119]
	;; [unrolled: 1-line block ×4, first 2 shown]
	v_lshl_add_u32 v118, v190, 5, 0
	v_fma_f64 v[172:173], v[170:171], 2.0, -v[136:137]
	v_fma_f64 v[170:171], v[62:63], 2.0, -v[134:135]
	;; [unrolled: 1-line block ×3, first 2 shown]
	v_lshl_add_u32 v75, v192, 5, 0
	v_fma_f64 v[180:181], v[180:181], 2.0, -v[138:139]
	v_fma_f64 v[158:159], v[50:51], 2.0, -v[122:123]
	;; [unrolled: 1-line block ×4, first 2 shown]
	buffer_store_dword v0, off, s[36:39], 0 offset:68 ; 4-byte Folded Spill
	buffer_store_dword v1, off, s[36:39], 0 offset:72 ; 4-byte Folded Spill
	;; [unrolled: 1-line block ×4, first 2 shown]
	buffer_load_dword v0, off, s[36:39], 0 offset:8 ; 4-byte Folded Reload
	v_fma_f64 v[168:169], v[166:167], 2.0, -v[132:133]
	v_fma_f64 v[166:167], v[58:59], 2.0, -v[130:131]
	v_lshl_add_u32 v74, v194, 5, 0
	s_waitcnt vmcnt(0)
	v_lshl_add_u32 v110, v0, 5, 0
	ds_write_b128 v116, v[122:125] offset:16
	ds_write_b128 v118, v[126:129] offset:16
	ds_write_b128 v111, v[130:133] offset:16
	ds_write_b128 v110, v[134:137] offset:16
	ds_write_b128 v75, v[138:141] offset:16
	ds_write_b128 v79, v[150:153]
	ds_write_b128 v117, v[154:157]
	;; [unrolled: 1-line block ×8, first 2 shown]
	ds_write_b128 v78, v[146:149] offset:16
	s_and_saveexec_b32 s1, s0
	s_cbranch_execz .LBB0_17
; %bb.16:
	v_fma_f64 v[18:19], v[18:19], 2.0, -v[46:47]
	v_fma_f64 v[0:1], v[22:23], 2.0, -v[42:43]
	v_add_f64 v[125:126], v[46:47], -v[70:71]
	v_add_f64 v[123:124], v[18:19], -v[0:1]
	v_fma_f64 v[121:122], v[46:47], 2.0, -v[125:126]
	v_mov_b32_e32 v2, v125
	v_mov_b32_e32 v3, v126
	v_fma_f64 v[119:120], v[18:19], 2.0, -v[123:124]
	ds_write_b128 v74, v[119:122]
	buffer_store_dword v0, off, s[36:39], 0 offset:68 ; 4-byte Folded Spill
	buffer_store_dword v1, off, s[36:39], 0 offset:72 ; 4-byte Folded Spill
	;; [unrolled: 1-line block ×4, first 2 shown]
	ds_write_b128 v74, v[123:126] offset:16
.LBB0_17:
	s_or_b32 exec_lo, exec_lo, s1
	v_add_f64 v[12:13], v[8:9], -v[12:13]
	v_add_f64 v[66:67], v[76:77], -v[84:85]
	v_fma_f64 v[0:1], v[4:5], 2.0, -v[106:107]
	v_lshl_add_u32 v233, v226, 3, 0
	buffer_store_dword v194, off, s[36:39], 0 offset:108 ; 4-byte Folded Spill
	buffer_store_dword v193, off, s[36:39], 0 offset:104 ; 4-byte Folded Spill
	;; [unrolled: 1-line block ×3, first 2 shown]
	s_waitcnt lgkmcnt(0)
	s_waitcnt_vscnt null, 0x0
	s_barrier
	buffer_gl0_inv
	v_add_f64 v[22:23], v[20:21], -v[112:113]
	v_add_f64 v[58:59], v[64:65], -v[92:93]
	v_add_f64 v[18:19], v[32:33], -v[108:109]
	v_add_f64 v[46:47], v[52:53], -v[104:105]
	v_add_f64 v[50:51], v[56:57], -v[100:101]
	v_add_f64 v[62:63], v[72:73], -v[88:89]
	v_add_f64 v[54:55], v[60:61], -v[96:97]
	v_fma_f64 v[4:5], v[28:29], 2.0, -v[86:87]
	v_fma_f64 v[28:29], v[36:37], 2.0, -v[114:115]
	;; [unrolled: 1-line block ×8, first 2 shown]
	v_add_f64 v[125:126], v[82:83], v[66:67]
	v_add_f64 v[84:85], v[10:11], v[12:13]
	v_add_nc_u32_e32 v92, 0x1000, v233
	v_add_nc_u32_e32 v248, 0x2800, v233
	;; [unrolled: 1-line block ×6, first 2 shown]
	v_add_f64 v[108:109], v[90:91], v[58:59]
	v_fma_f64 v[32:33], v[32:33], 2.0, -v[18:19]
	v_fma_f64 v[38:39], v[52:53], 2.0, -v[46:47]
	;; [unrolled: 1-line block ×5, first 2 shown]
	v_add_f64 v[88:89], v[14:15], v[18:19]
	v_add_f64 v[96:97], v[102:103], v[46:47]
	;; [unrolled: 1-line block ×5, first 2 shown]
	v_fma_f64 v[44:45], v[60:61], 2.0, -v[54:55]
	v_add_nc_u32_e32 v91, 0x800, v233
	v_add_f64 v[82:83], v[8:9], -v[0:1]
	ds_read_b64 v[1:2], v233
	buffer_load_dword v0, off, s[36:39], 0 offset:8 ; 4-byte Folded Reload
	v_fma_f64 v[129:130], v[12:13], 2.0, -v[84:85]
	v_fma_f64 v[56:57], v[76:77], 2.0, -v[66:67]
	v_add_nc_u32_e32 v135, 0x1c00, v233
	v_fma_f64 v[183:184], v[66:67], 2.0, -v[125:126]
	v_lshl_add_u32 v238, v188, 3, 0
	s_waitcnt lgkmcnt(0)
	buffer_store_dword v1, off, s[36:39], 0 offset:12 ; 4-byte Folded Spill
	buffer_store_dword v2, off, s[36:39], 0 offset:16 ; 4-byte Folded Spill
	v_add_f64 v[2:3], v[42:43], v[22:23]
	v_add_f64 v[86:87], v[32:33], -v[4:5]
	v_add_f64 v[94:95], v[38:39], -v[28:29]
	;; [unrolled: 1-line block ×5, first 2 shown]
	v_add_nc_u32_e32 v7, 0x1800, v233
	v_fma_f64 v[133:134], v[18:19], 2.0, -v[88:89]
	v_fma_f64 v[141:142], v[46:47], 2.0, -v[96:97]
	;; [unrolled: 1-line block ×5, first 2 shown]
	v_add_f64 v[102:103], v[44:45], -v[26:27]
	v_add_f64 v[123:124], v[56:57], -v[36:37]
	v_fma_f64 v[168:169], v[58:59], 2.0, -v[108:109]
	v_lshl_add_u32 v6, v191, 3, 0
	v_fma_f64 v[164:165], v[54:55], 2.0, -v[104:105]
	v_fma_f64 v[131:132], v[32:33], 2.0, -v[86:87]
	;; [unrolled: 1-line block ×8, first 2 shown]
	s_waitcnt vmcnt(0)
	v_mul_i32_i24_e32 v90, 0xffffffe8, v0
	v_mad_i32_i24 v0, 0xffffffe8, v0, v110
	buffer_store_dword v0, off, s[36:39], 0 offset:36 ; 4-byte Folded Spill
	buffer_store_dword v1, off, s[36:39], 0 offset:40 ; 4-byte Folded Spill
	;; [unrolled: 1-line block ×4, first 2 shown]
	v_lshl_add_u32 v2, v189, 3, 0
	ds_read2_b64 v[50:53], v92 offset0:48 offset1:104
	ds_read2_b64 v[46:49], v7 offset0:16 offset1:72
	;; [unrolled: 1-line block ×8, first 2 shown]
	ds_read_b64 v[3:4], v2
	s_waitcnt lgkmcnt(0)
	buffer_store_dword v3, off, s[36:39], 0 offset:20 ; 4-byte Folded Spill
	buffer_store_dword v4, off, s[36:39], 0 offset:24 ; 4-byte Folded Spill
	v_lshl_add_u32 v3, v190, 3, 0
	buffer_store_dword v190, off, s[36:39], 0 offset:60 ; 4-byte Folded Spill
	ds_read2_b64 v[58:61], v92 offset0:160 offset1:216
	ds_read2_b64 v[42:45], v122 offset0:80 offset1:136
	ds_read2_b64 v[26:29], v138 offset1:56
	buffer_store_dword v3, off, s[36:39], 0 ; 4-byte Folded Spill
	ds_read_b64 v[3:4], v3
	s_waitcnt lgkmcnt(0)
	buffer_store_dword v3, off, s[36:39], 0 offset:28 ; 4-byte Folded Spill
	buffer_store_dword v4, off, s[36:39], 0 offset:32 ; 4-byte Folded Spill
	;; [unrolled: 1-line block ×3, first 2 shown]
	ds_read2_b64 v[66:69], v91 offset0:192 offset1:248
	ds_read2_b64 v[54:57], v135 offset0:112 offset1:168
	;; [unrolled: 1-line block ×3, first 2 shown]
	ds_read_b64 v[156:157], v0
	ds_read_b64 v[3:4], v6
	s_waitcnt lgkmcnt(0)
	buffer_store_dword v3, off, s[36:39], 0 offset:88 ; 4-byte Folded Spill
	buffer_store_dword v4, off, s[36:39], 0 offset:92 ; 4-byte Folded Spill
	ds_read_b64 v[3:4], v238
	s_waitcnt lgkmcnt(0)
	buffer_store_dword v3, off, s[36:39], 0 offset:96 ; 4-byte Folded Spill
	buffer_store_dword v4, off, s[36:39], 0 offset:100 ; 4-byte Folded Spill
	ds_read_b64 v[154:155], v233 offset:15232
	s_waitcnt lgkmcnt(0)
	s_waitcnt_vscnt null, 0x0
	s_barrier
	buffer_gl0_inv
	ds_write_b128 v79, v[127:130]
	ds_write_b128 v79, v[82:85] offset:16
	ds_write_b128 v117, v[131:134]
	ds_write_b128 v117, v[86:89] offset:16
	;; [unrolled: 2-line block ×8, first 2 shown]
	s_and_saveexec_b32 s1, s0
	s_cbranch_execz .LBB0_19
; %bb.18:
	v_fma_f64 v[4:5], v[24:25], 2.0, -v[70:71]
	s_clause 0x3
	buffer_load_dword v70, off, s[36:39], 0 offset:36
	buffer_load_dword v71, off, s[36:39], 0 offset:40
	;; [unrolled: 1-line block ×4, first 2 shown]
	v_fma_f64 v[20:21], v[20:21], 2.0, -v[22:23]
	s_waitcnt vmcnt(2)
	v_add_f64 v[70:71], v[20:21], -v[4:5]
	v_fma_f64 v[20:21], v[20:21], 2.0, -v[70:71]
	s_waitcnt vmcnt(0)
	v_fma_f64 v[22:23], v[22:23], 2.0, -v[72:73]
	v_mov_b32_e32 v3, v72
	v_mov_b32_e32 v4, v73
	ds_write_b128 v74, v[20:23]
	buffer_store_dword v1, off, s[36:39], 0 offset:36 ; 4-byte Folded Spill
	buffer_store_dword v2, off, s[36:39], 0 offset:40 ; 4-byte Folded Spill
	;; [unrolled: 1-line block ×4, first 2 shown]
	ds_write_b128 v74, v[70:73] offset:16
.LBB0_19:
	s_or_b32 exec_lo, exec_lo, s1
	v_and_b32_e32 v4, 3, v226
	s_waitcnt lgkmcnt(0)
	s_waitcnt_vscnt null, 0x0
	s_barrier
	buffer_gl0_inv
	v_add_nc_u32_e32 v3, v110, v90
	v_mul_u32_u24_e32 v0, 6, v4
	v_lshrrev_b32_e32 v255, 2, v188
	v_mov_b32_e32 v165, v7
	v_mov_b32_e32 v160, v2
	s_mov_b32 s16, 0xe976ee23
	v_lshlrev_b32_e32 v0, 4, v0
	s_mov_b32 s6, 0x429ad128
	s_mov_b32 s17, 0xbfe11646
	;; [unrolled: 1-line block ×4, first 2 shown]
	s_clause 0x5
	global_load_dwordx4 v[86:89], v0, s[12:13]
	global_load_dwordx4 v[74:77], v0, s[12:13] offset:16
	global_load_dwordx4 v[20:23], v0, s[12:13] offset:32
	;; [unrolled: 1-line block ×5, first 2 shown]
	v_mov_b32_e32 v0, v92
	ds_read2_b64 v[98:101], v91 offset0:80 offset1:136
	ds_read2_b64 v[94:97], v91 offset0:192 offset1:248
	buffer_store_dword v3, off, s[36:39], 0 offset:4 ; 4-byte Folded Spill
	ds_read2_b64 v[90:93], v92 offset0:48 offset1:104
	ds_read2_b64 v[106:109], v7 offset0:16 offset1:72
	;; [unrolled: 1-line block ×10, first 2 shown]
	ds_read2_b64 v[138:141], v138 offset1:56
	ds_read2_b64 v[142:145], v247 offset0:32 offset1:88
	ds_read_b64 v[24:25], v3
	ds_read_b64 v[146:147], v2
	v_lshrrev_b32_e32 v7, 2, v189
	s_mov_b32 s8, 0x36b3c0b5
	s_mov_b32 s18, 0xb247c609
	;; [unrolled: 1-line block ×13, first 2 shown]
	v_lshrrev_b32_e32 v180, 2, v226
	s_waitcnt lgkmcnt(0)
	buffer_store_dword v146, off, s[36:39], 0 offset:116 ; 4-byte Folded Spill
	buffer_store_dword v147, off, s[36:39], 0 offset:120 ; 4-byte Folded Spill
	ds_read_b64 v[146:147], v238
	v_mul_lo_u32 v7, v7, 28
	s_mov_b32 s22, 0x37c3f68c
	s_mov_b32 s23, 0x3fdc38aa
	v_cmp_gt_u32_e64 s0, 28, v226
	s_waitcnt lgkmcnt(0)
	buffer_store_dword v146, off, s[36:39], 0 offset:124 ; 4-byte Folded Spill
	buffer_store_dword v147, off, s[36:39], 0 offset:128 ; 4-byte Folded Spill
	ds_read_b64 v[181:182], v233 offset:15232
	ds_read_b64 v[146:147], v233
	v_or_b32_e32 v7, v7, v4
	s_waitcnt lgkmcnt(0)
	buffer_store_dword v146, off, s[36:39], 0 offset:132 ; 4-byte Folded Spill
	buffer_store_dword v147, off, s[36:39], 0 offset:136 ; 4-byte Folded Spill
	;; [unrolled: 1-line block ×3, first 2 shown]
	ds_read_b64 v[146:147], v6
	buffer_store_dword v189, off, s[36:39], 0 offset:56 ; 4-byte Folded Spill
	s_waitcnt lgkmcnt(0)
	buffer_store_dword v146, off, s[36:39], 0 offset:140 ; 4-byte Folded Spill
	buffer_store_dword v147, off, s[36:39], 0 offset:144 ; 4-byte Folded Spill
	s_waitcnt vmcnt(5)
	v_mul_f64 v[168:169], v[100:101], v[88:89]
	v_mul_f64 v[170:171], v[62:63], v[88:89]
	s_waitcnt vmcnt(4)
	v_mul_f64 v[208:209], v[52:53], v[76:77]
	s_waitcnt vmcnt(3)
	;; [unrolled: 2-line block ×3, first 2 shown]
	v_mul_f64 v[239:240], v[120:121], v[80:81]
	v_mul_f64 v[166:167], v[98:99], v[88:89]
	;; [unrolled: 1-line block ×18, first 2 shown]
	v_fma_f64 v[88:89], v[64:65], v[86:87], -v[168:169]
	v_fma_f64 v[168:169], v[98:99], v[86:87], v[170:171]
	v_fma_f64 v[170:171], v[92:93], v[74:75], v[208:209]
	v_fma_f64 v[208:209], v[48:49], v[20:21], -v[218:219]
	v_fma_f64 v[218:219], v[14:15], v[78:79], -v[239:240]
	s_clause 0x1
	buffer_load_dword v239, off, s[36:39], 0 offset:60
	buffer_load_dword v240, off, s[36:39], 0 offset:64
	s_waitcnt vmcnt(2)
	v_mul_f64 v[249:250], v[102:103], v[84:85]
	v_mul_f64 v[227:228], v[126:127], v[22:23]
	;; [unrolled: 1-line block ×9, first 2 shown]
	v_fma_f64 v[198:199], v[156:157], v[86:87], -v[189:190]
	v_mul_f64 v[189:190], v[116:117], v[72:73]
	v_fma_f64 v[156:157], v[52:53], v[74:75], -v[195:196]
	v_mul_f64 v[52:53], v[134:135], v[80:81]
	v_mul_f64 v[200:201], v[50:51], v[76:77]
	;; [unrolled: 1-line block ×8, first 2 shown]
	v_fma_f64 v[166:167], v[62:63], v[86:87], -v[166:167]
	v_fma_f64 v[98:99], v[100:101], v[86:87], v[172:173]
	v_fma_f64 v[163:164], v[66:67], v[86:87], -v[174:175]
	v_fma_f64 v[65:66], v[68:69], v[86:87], -v[183:184]
	v_mul_f64 v[183:184], v[122:123], v[84:85]
	v_fma_f64 v[68:69], v[94:95], v[86:87], v[185:186]
	v_fma_f64 v[161:162], v[96:97], v[86:87], v[187:188]
	v_mul_f64 v[96:97], v[42:43], v[84:85]
	v_mul_f64 v[94:95], v[124:125], v[84:85]
	;; [unrolled: 1-line block ×3, first 2 shown]
	v_mov_b32_e32 v64, v6
	v_fma_f64 v[202:203], v[24:25], v[86:87], v[191:192]
	v_mul_f64 v[24:25], v[118:119], v[84:85]
	v_mul_f64 v[187:188], v[12:13], v[84:85]
	v_fma_f64 v[204:205], v[50:51], v[74:75], -v[193:194]
	v_mul_f64 v[50:51], v[10:11], v[72:73]
	v_mul_f64 v[191:192], v[136:137], v[80:81]
	;; [unrolled: 1-line block ×3, first 2 shown]
	v_fma_f64 v[100:101], v[58:59], v[74:75], -v[210:211]
	v_fma_f64 v[84:85], v[60:61], v[74:75], -v[212:213]
	v_mul_f64 v[152:153], v[18:19], v[80:81]
	v_mul_f64 v[5:6], v[138:139], v[72:73]
	v_fma_f64 v[110:111], v[110:111], v[74:75], v[214:215]
	v_fma_f64 v[86:87], v[112:113], v[74:75], v[216:217]
	v_mul_f64 v[112:113], v[26:27], v[72:73]
	v_mul_f64 v[241:242], v[140:141], v[72:73]
	v_fma_f64 v[58:59], v[46:47], v[74:75], -v[222:223]
	v_mul_f64 v[46:47], v[28:29], v[72:73]
	v_mul_f64 v[48:49], v[142:143], v[80:81]
	;; [unrolled: 1-line block ×4, first 2 shown]
	v_fma_f64 v[212:213], v[108:109], v[20:21], v[220:221]
	v_mul_f64 v[158:159], v[36:37], v[80:81]
	v_mul_f64 v[62:63], v[181:182], v[72:73]
	v_fma_f64 v[214:215], v[30:31], v[82:83], -v[249:250]
	v_mul_f64 v[30:31], v[154:155], v[72:73]
	v_fma_f64 v[220:221], v[8:9], v[70:71], -v[224:225]
	v_fma_f64 v[92:93], v[130:131], v[20:21], v[150:151]
	v_fma_f64 v[72:73], v[132:133], v[20:21], v[22:23]
	v_fma_f64 v[132:133], v[10:11], v[70:71], -v[189:190]
	v_fma_f64 v[130:131], v[16:17], v[78:79], -v[52:53]
	v_fma_f64 v[206:207], v[90:91], v[74:75], v[200:201]
	v_fma_f64 v[60:61], v[106:107], v[74:75], v[76:77]
	v_fma_f64 v[172:173], v[32:33], v[82:83], -v[236:237]
	v_fma_f64 v[216:217], v[102:103], v[82:83], v[251:252]
	v_fma_f64 v[222:223], v[120:121], v[78:79], v[253:254]
	buffer_load_dword v253, off, s[36:39], 0 offset:84 ; 4-byte Folded Reload
	v_fma_f64 v[224:225], v[114:115], v[70:71], v[234:235]
	s_clause 0x1
	buffer_load_dword v235, off, s[36:39], 0 offset:104
	buffer_load_dword v236, off, s[36:39], 0 offset:108
	v_fma_f64 v[196:197], v[104:105], v[82:83], v[231:232]
	v_fma_f64 v[174:175], v[38:39], v[20:21], -v[227:228]
	v_fma_f64 v[200:201], v[126:127], v[20:21], v[229:230]
	v_fma_f64 v[114:115], v[40:41], v[20:21], -v[0:1]
	v_fma_f64 v[120:121], v[128:129], v[20:21], v[2:3]
	v_fma_f64 v[122:123], v[122:123], v[82:83], v[96:97]
	v_fma_f64 v[96:97], v[124:125], v[82:83], v[185:186]
	v_fma_f64 v[74:75], v[12:13], v[82:83], -v[24:25]
	v_fma_f64 v[76:77], v[118:119], v[82:83], v[187:188]
	v_fma_f64 v[134:135], v[134:135], v[78:79], v[193:194]
	;; [unrolled: 4-line block ×3, first 2 shown]
	v_fma_f64 v[106:107], v[34:35], v[78:79], -v[48:49]
	v_fma_f64 v[108:109], v[142:143], v[78:79], v[243:244]
	v_fma_f64 v[80:81], v[36:37], v[78:79], -v[245:246]
	v_fma_f64 v[78:79], v[144:145], v[78:79], v[158:159]
	v_add_f64 v[0:1], v[198:199], v[220:221]
	v_add_f64 v[2:3], v[204:205], v[218:219]
	;; [unrolled: 1-line block ×5, first 2 shown]
	v_fma_f64 v[126:127], v[42:43], v[82:83], -v[183:184]
	v_fma_f64 v[94:95], v[44:45], v[82:83], -v[94:95]
	;; [unrolled: 1-line block ×7, first 2 shown]
	v_fma_f64 v[112:113], v[140:141], v[70:71], v[46:47]
	v_fma_f64 v[70:71], v[181:182], v[70:71], v[30:31]
	v_add_f64 v[5:6], v[206:207], -v[222:223]
	v_add_f64 v[8:9], v[216:217], -v[212:213]
	;; [unrolled: 1-line block ×5, first 2 shown]
	v_add_f64 v[22:23], v[174:175], v[172:173]
	v_add_f64 v[32:33], v[110:111], -v[118:119]
	v_add_f64 v[34:35], v[122:123], -v[120:121]
	v_add_f64 v[36:37], v[98:99], -v[128:129]
	v_add_f64 v[42:43], v[86:87], -v[108:109]
	v_add_f64 v[44:45], v[96:97], -v[92:93]
	v_add_f64 v[62:63], v[60:61], -v[78:79]
	v_add_f64 v[104:105], v[76:77], -v[72:73]
	v_add_f64 v[138:139], v[2:3], v[0:1]
	v_add_f64 v[144:145], v[0:1], -v[12:13]
	v_add_f64 v[146:147], v[12:13], -v[2:3]
	;; [unrolled: 1-line block ×3, first 2 shown]
	v_add_f64 v[2:3], v[16:17], v[14:15]
	v_mov_b32_e32 v242, v66
	v_mov_b32_e32 v241, v65
	;; [unrolled: 1-line block ×4, first 2 shown]
	v_add_f64 v[24:25], v[168:169], -v[210:211]
	v_add_f64 v[48:49], v[58:59], v[80:81]
	v_add_f64 v[46:47], v[241:242], v[82:83]
	;; [unrolled: 1-line block ×8, first 2 shown]
	v_add_f64 v[52:53], v[68:69], -v[112:113]
	v_add_f64 v[54:55], v[56:57], v[74:75]
	v_add_f64 v[136:137], v[243:244], -v[70:71]
	v_add_f64 v[140:141], v[8:9], -v[5:6]
	;; [unrolled: 1-line block ×3, first 2 shown]
	v_add_f64 v[5:6], v[8:9], v[5:6]
	v_add_f64 v[148:149], v[20:21], v[18:19]
	v_add_f64 v[150:151], v[16:17], -v[14:15]
	v_add_f64 v[14:15], v[14:15], -v[22:23]
	;; [unrolled: 1-line block ×3, first 2 shown]
	v_add_f64 v[181:182], v[34:35], v[32:33]
	v_add_f64 v[183:184], v[34:35], -v[32:33]
	v_add_f64 v[32:33], v[32:33], -v[36:37]
	v_add_f64 v[187:188], v[44:45], v[42:43]
	v_add_f64 v[2:3], v[22:23], v[2:3]
	;; [unrolled: 1-line block ×3, first 2 shown]
	v_add_f64 v[152:153], v[20:21], -v[18:19]
	v_add_f64 v[18:19], v[18:19], -v[24:25]
	v_add_f64 v[189:190], v[48:49], v[46:47]
	v_add_f64 v[8:9], v[10:11], -v[8:9]
	v_add_f64 v[20:21], v[24:25], -v[20:21]
	v_add_f64 v[154:155], v[28:29], v[26:27]
	v_add_f64 v[158:159], v[28:29], -v[26:27]
	v_add_f64 v[26:27], v[26:27], -v[30:31]
	;; [unrolled: 1-line block ×4, first 2 shown]
	v_add_f64 v[185:186], v[40:41], v[38:39]
	v_add_f64 v[12:13], v[12:13], v[138:139]
	v_add_f64 v[138:139], v[40:41], -v[38:39]
	v_add_f64 v[38:39], v[38:39], -v[50:51]
	;; [unrolled: 1-line block ×3, first 2 shown]
	v_add_f64 v[5:6], v[5:6], v[10:11]
	v_add_f64 v[10:11], v[44:45], -v[42:43]
	v_add_f64 v[44:45], v[52:53], -v[44:45]
	;; [unrolled: 1-line block ×3, first 2 shown]
	v_add_f64 v[24:25], v[148:149], v[24:25]
	v_add_f64 v[148:149], v[48:49], -v[46:47]
	v_mul_f64 v[140:141], v[140:141], s[16:17]
	v_add_f64 v[48:49], v[54:55], -v[48:49]
	v_add_f64 v[52:53], v[187:188], v[52:53]
	v_add_f64 v[187:188], v[104:105], -v[62:63]
	v_add_f64 v[104:105], v[136:137], -v[104:105]
	;; [unrolled: 1-line block ×3, first 2 shown]
	v_mul_f64 v[183:184], v[183:184], s[16:17]
	v_add_f64 v[22:23], v[22:23], v[136:137]
	v_mul_f64 v[136:137], v[32:33], s[6:7]
	v_add_f64 v[46:47], v[46:47], -v[54:55]
	v_mul_f64 v[152:153], v[152:153], s[16:17]
	v_add_f64 v[54:55], v[54:55], v[189:190]
	v_mul_f64 v[189:190], v[18:19], s[6:7]
	v_add_f64 v[30:31], v[30:31], v[154:155]
	;; [unrolled: 2-line block ×3, first 2 shown]
	v_mul_f64 v[181:182], v[146:147], s[8:9]
	v_mul_f64 v[26:27], v[26:27], s[24:25]
	;; [unrolled: 1-line block ×3, first 2 shown]
	v_add_f64 v[50:51], v[50:51], v[185:186]
	v_mul_f64 v[144:145], v[144:145], s[24:25]
	v_mul_f64 v[14:15], v[14:15], s[24:25]
	v_fma_f64 v[191:192], v[142:143], s[6:7], -v[140:141]
	v_fma_f64 v[193:194], v[8:9], s[18:19], v[140:141]
	v_mul_f64 v[140:141], v[28:29], s[8:9]
	v_mul_f64 v[142:143], v[40:41], s[8:9]
	;; [unrolled: 1-line block ×4, first 2 shown]
	v_fma_f64 v[32:33], v[32:33], s[6:7], -v[183:184]
	v_fma_f64 v[183:184], v[34:35], s[18:19], v[183:184]
	v_fma_f64 v[34:35], v[34:35], s[20:21], -v[136:137]
	v_mul_f64 v[136:137], v[48:49], s[8:9]
	v_fma_f64 v[18:19], v[18:19], s[6:7], -v[152:153]
	v_fma_f64 v[152:153], v[20:21], s[18:19], v[152:153]
	v_fma_f64 v[20:21], v[20:21], s[20:21], -v[189:190]
	v_mul_f64 v[46:47], v[46:47], s[24:25]
	v_fma_f64 v[8:9], v[8:9], s[20:21], -v[154:155]
	v_fma_f64 v[154:155], v[0:1], s[26:27], -v[181:182]
	v_mul_f64 v[181:182], v[187:188], s[16:17]
	v_fma_f64 v[28:29], v[28:29], s[8:9], v[26:27]
	v_fma_f64 v[26:27], v[158:159], s[28:29], -v[26:27]
	v_fma_f64 v[40:41], v[40:41], s[8:9], v[38:39]
	v_fma_f64 v[38:39], v[138:139], s[28:29], -v[38:39]
	;; [unrolled: 2-line block ×3, first 2 shown]
	v_fma_f64 v[187:188], v[158:159], s[26:27], -v[140:141]
	v_fma_f64 v[158:159], v[138:139], s[26:27], -v[142:143]
	s_clause 0x3
	buffer_load_dword v138, off, s[36:39], 0 offset:12
	buffer_load_dword v139, off, s[36:39], 0 offset:16
	;; [unrolled: 1-line block ×4, first 2 shown]
	v_fma_f64 v[16:17], v[16:17], s[8:9], v[14:15]
	v_fma_f64 v[144:145], v[150:151], s[26:27], -v[185:186]
	v_fma_f64 v[14:15], v[150:151], s[28:29], -v[14:15]
	;; [unrolled: 1-line block ×3, first 2 shown]
	v_mul_f64 v[150:151], v[42:43], s[6:7]
	v_mul_f64 v[185:186], v[62:63], s[6:7]
	v_fma_f64 v[42:43], v[42:43], s[6:7], -v[10:11]
	v_fma_f64 v[48:49], v[48:49], s[8:9], v[46:47]
	v_fma_f64 v[46:47], v[148:149], s[28:29], -v[46:47]
	v_fma_f64 v[10:11], v[44:45], s[18:19], v[10:11]
	v_mul_lo_u32 v142, v255, 28
	v_fma_f64 v[62:63], v[62:63], s[6:7], -v[181:182]
	v_fma_f64 v[181:182], v[104:105], s[18:19], v[181:182]
	v_fma_f64 v[193:194], v[5:6], s[22:23], v[193:194]
	;; [unrolled: 1-line block ×7, first 2 shown]
	v_fma_f64 v[44:45], v[44:45], s[20:21], -v[150:151]
	v_fma_f64 v[104:105], v[104:105], s[20:21], -v[185:186]
	v_fma_f64 v[10:11], v[52:53], s[22:23], v[10:11]
	v_fma_f64 v[44:45], v[52:53], s[22:23], v[44:45]
	s_waitcnt vmcnt(8)
	v_lshrrev_b32_e32 v189, 2, v239
	s_waitcnt vmcnt(7)
	v_lshrrev_b32_e32 v195, 2, v240
	v_mul_lo_u32 v143, v189, 28
	s_clause 0x4
	buffer_load_dword v189, off, s[36:39], 0 offset:20
	buffer_load_dword v190, off, s[36:39], 0 offset:24
	buffer_load_dword v136, off, s[36:39], 0 offset:28
	buffer_load_dword v137, off, s[36:39], 0 offset:32
	buffer_load_dword v161, off, s[36:39], 0
	v_or_b32_e32 v231, v143, v4
	s_waitcnt vmcnt(11)
	v_lshl_add_u32 v232, v253, 3, 0
	s_waitcnt vmcnt(10)
	v_lshl_add_u32 v65, v235, 3, 0
	;; [unrolled: 2-line block ×3, first 2 shown]
	s_waitcnt vmcnt(7)
	v_add_f64 v[150:151], v[138:139], v[12:13]
	s_waitcnt vmcnt(5)
	v_add_f64 v[185:186], v[140:141], v[2:3]
	v_mul_u32_u24_e32 v141, 28, v180
	v_mul_lo_u32 v180, v195, 28
	v_or_b32_e32 v195, v142, v4
	v_add_nc_u32_e32 v139, 0xc00, v233
	v_add_nc_u32_e32 v138, 0x1400, v233
	v_or_b32_e32 v141, v141, v4
	v_add_nc_u32_e32 v140, 0x3400, v233
	v_lshl_add_u32 v143, v195, 3, 0
	v_or_b32_e32 v180, v180, v4
	v_fma_f64 v[4:5], v[5:6], s[22:23], v[8:9]
	v_fma_f64 v[8:9], v[24:25], s[22:23], v[152:153]
	v_lshl_add_u32 v142, v141, 3, 0
	v_lshl_add_u32 v141, v7, 3, 0
	v_fma_f64 v[12:13], v[12:13], s[14:15], v[150:151]
	v_fma_f64 v[2:3], v[2:3], s[14:15], v[185:186]
	v_add_f64 v[146:147], v[146:147], v[12:13]
	v_add_f64 v[0:1], v[0:1], v[12:13]
	;; [unrolled: 1-line block ×4, first 2 shown]
	v_add_f64 v[152:153], v[12:13], -v[191:192]
	v_add_f64 v[12:13], v[191:192], v[12:13]
	s_waitcnt vmcnt(3)
	v_add_f64 v[189:190], v[189:190], v[30:31]
	s_waitcnt vmcnt(1)
	;; [unrolled: 2-line block ×3, first 2 shown]
	ds_read_b64 v[136:137], v161
	s_clause 0x1
	buffer_load_dword v148, off, s[36:39], 0 offset:88
	buffer_load_dword v149, off, s[36:39], 0 offset:92
	s_waitcnt vmcnt(0) lgkmcnt(0)
	s_waitcnt_vscnt null, 0x0
	s_barrier
	buffer_gl0_inv
	v_fma_f64 v[30:31], v[30:31], s[14:15], v[189:190]
	v_fma_f64 v[50:51], v[50:51], s[14:15], v[229:230]
	v_add_f64 v[28:29], v[28:29], v[30:31]
	v_add_f64 v[26:27], v[26:27], v[30:31]
	;; [unrolled: 1-line block ×6, first 2 shown]
	v_fma_f64 v[24:25], v[54:55], s[14:15], v[148:149]
	v_fma_f64 v[54:55], v[36:37], s[22:23], v[183:184]
	v_fma_f64 v[36:37], v[52:53], s[22:23], v[42:43]
	v_add_f64 v[42:43], v[144:145], v[2:3]
	v_add_f64 v[2:3], v[16:17], v[2:3]
	v_fma_f64 v[16:17], v[22:23], s[22:23], v[62:63]
	v_add_f64 v[62:63], v[158:159], v[50:51]
	v_fma_f64 v[52:53], v[22:23], s[22:23], v[181:182]
	v_fma_f64 v[22:23], v[22:23], s[22:23], v[104:105]
	v_add_f64 v[104:105], v[4:5], v[0:1]
	v_add_f64 v[4:5], v[0:1], -v[4:5]
	v_add_f64 v[158:159], v[34:35], v[26:27]
	v_add_f64 v[181:182], v[30:31], -v[32:33]
	;; [unrolled: 2-line block ×3, first 2 shown]
	v_lshl_add_u32 v145, v231, 3, 0
	v_lshl_add_u32 v144, v180, 3, 0
	v_add_f64 v[50:51], v[227:228], v[24:25]
	v_add_f64 v[46:47], v[46:47], v[24:25]
	;; [unrolled: 1-line block ×4, first 2 shown]
	v_add_f64 v[146:147], v[146:147], -v[193:194]
	v_add_f64 v[154:155], v[42:43], -v[18:19]
	v_add_f64 v[18:19], v[18:19], v[42:43]
	v_add_f64 v[42:43], v[20:21], v[14:15]
	v_add_f64 v[14:15], v[14:15], -v[20:21]
	v_add_f64 v[20:21], v[8:9], v[2:3]
	v_add_f64 v[2:3], v[2:3], -v[8:9]
	;; [unrolled: 2-line block ×3, first 2 shown]
	v_add_f64 v[32:33], v[62:63], -v[36:37]
	v_add_f64 v[34:35], v[36:37], v[62:63]
	v_add_f64 v[36:37], v[44:45], v[38:39]
	v_add_f64 v[38:39], v[38:39], -v[44:45]
	v_add_f64 v[44:45], v[10:11], v[40:41]
	v_add_f64 v[10:11], v[40:41], -v[10:11]
	v_add_f64 v[40:41], v[50:51], -v[16:17]
	v_add_f64 v[16:17], v[16:17], v[50:51]
	v_add_f64 v[50:51], v[52:53], v[24:25]
	;; [unrolled: 1-line block ×3, first 2 shown]
	v_add_f64 v[22:23], v[46:47], -v[22:23]
	v_add_f64 v[0:1], v[24:25], -v[52:53]
	ds_write2_b64 v142, v[150:151], v[48:49] offset1:4
	ds_write2_b64 v142, v[104:105], v[152:153] offset0:8 offset1:12
	ds_write2_b64 v142, v[12:13], v[4:5] offset0:16 offset1:20
	ds_write_b64 v142, v[146:147] offset:192
	ds_write2_b64 v143, v[185:186], v[20:21] offset1:4
	ds_write2_b64 v143, v[42:43], v[154:155] offset0:8 offset1:12
	ds_write2_b64 v143, v[18:19], v[14:15] offset0:16 offset1:20
	ds_write_b64 v143, v[2:3] offset:192
	;; [unrolled: 4-line block ×5, first 2 shown]
	v_add_nc_u32_e32 v2, 0x1c00, v233
	v_add_nc_u32_e32 v3, 0x2000, v233
	s_waitcnt lgkmcnt(0)
	s_barrier
	buffer_gl0_inv
	ds_read_b64 v[104:105], v233
	ds_read2_b64 v[28:31], v2 offset0:84 offset1:140
	ds_read2_b64 v[20:23], v3 offset0:68 offset1:124
	ds_read_b64 v[190:191], v161
	buffer_load_dword v2, off, s[36:39], 0 offset:4 ; 4-byte Folded Reload
	ds_read_b64 v[188:189], v64
	ds_read_b64 v[182:183], v65
	;; [unrolled: 1-line block ×3, first 2 shown]
	buffer_store_dword v64, off, s[36:39], 0 offset:28 ; 4-byte Folded Spill
	buffer_store_dword v232, off, s[36:39], 0 offset:96 ; 4-byte Folded Spill
	;; [unrolled: 1-line block ×6, first 2 shown]
	ds_read_b64 v[184:185], v232
	ds_read_b64 v[180:181], v237
	s_waitcnt vmcnt(0)
	ds_read_b64 v[186:187], v2
	v_add_nc_u32_e32 v2, 0x1000, v233
	ds_read_b64 v[194:195], v238
	ds_read_b64 v[4:5], v233 offset:15008
	ds_read2_b64 v[36:39], v3 offset0:180 offset1:236
	ds_read2_b64 v[32:35], v248 offset0:36 offset1:92
	;; [unrolled: 1-line block ×10, first 2 shown]
	s_and_saveexec_b32 s1, s0
	s_cbranch_execz .LBB0_21
; %bb.20:
	ds_read_b64 v[0:1], v233 offset:7616
	ds_read_b64 v[2:3], v233 offset:15456
	s_waitcnt lgkmcnt(0)
	buffer_store_dword v0, off, s[36:39], 0 offset:68 ; 4-byte Folded Spill
	buffer_store_dword v1, off, s[36:39], 0 offset:72 ; 4-byte Folded Spill
	;; [unrolled: 1-line block ×4, first 2 shown]
.LBB0_21:
	s_or_b32 exec_lo, exec_lo, s1
	v_add_f64 v[2:3], v[202:203], v[224:225]
	v_add_f64 v[6:7], v[206:207], v[222:223]
	v_add_f64 v[146:147], v[204:205], -v[218:219]
	v_add_f64 v[150:151], v[214:215], -v[208:209]
	;; [unrolled: 1-line block ×3, first 2 shown]
	v_add_f64 v[148:149], v[212:213], v[216:217]
	v_add_f64 v[152:153], v[168:169], v[210:211]
	;; [unrolled: 1-line block ×3, first 2 shown]
	v_add_f64 v[130:131], v[156:157], -v[130:131]
	v_add_f64 v[154:155], v[200:201], v[196:197]
	v_add_f64 v[156:157], v[172:173], -v[174:175]
	v_add_f64 v[98:99], v[98:99], v[128:129]
	v_add_f64 v[110:111], v[110:111], v[118:119]
	v_add_f64 v[100:101], v[100:101], -v[116:117]
	v_add_f64 v[116:117], v[120:121], v[122:123]
	v_add_f64 v[114:115], v[126:127], -v[114:115]
	v_add_f64 v[60:61], v[60:61], v[78:79]
	v_add_f64 v[64:65], v[243:244], v[70:71]
	v_add_f64 v[70:71], v[241:242], -v[82:83]
	v_add_f64 v[58:59], v[58:59], -v[80:81]
	v_add_f64 v[72:73], v[72:73], v[76:77]
	v_add_f64 v[132:133], v[166:167], -v[132:133]
	v_add_f64 v[88:89], v[88:89], -v[124:125]
	;; [unrolled: 3-line block ×4, first 2 shown]
	s_clause 0x1
	buffer_load_dword v150, off, s[36:39], 0 offset:132
	buffer_load_dword v151, off, s[36:39], 0 offset:136
	v_add_f64 v[86:87], v[86:87], v[108:109]
	v_add_f64 v[84:85], v[84:85], -v[106:107]
	v_add_f64 v[106:107], v[152:153], -v[154:155]
	;; [unrolled: 1-line block ×3, first 2 shown]
	v_add_f64 v[124:125], v[110:111], v[98:99]
	v_add_f64 v[126:127], v[110:111], -v[98:99]
	v_add_f64 v[110:111], v[116:117], -v[110:111]
	v_add_f64 v[128:129], v[114:115], v[100:101]
	v_add_f64 v[56:57], v[74:75], -v[56:57]
	v_add_f64 v[74:75], v[6:7], -v[2:3]
	;; [unrolled: 1-line block ×4, first 2 shown]
	v_add_f64 v[68:69], v[68:69], v[112:113]
	v_add_f64 v[92:93], v[92:93], v[96:97]
	v_add_f64 v[96:97], v[134:135], -v[152:153]
	v_add_f64 v[102:103], v[148:149], v[118:119]
	v_add_f64 v[118:119], v[156:157], -v[130:131]
	v_mul_f64 v[78:79], v[78:79], s[16:17]
	v_add_f64 v[112:113], v[156:157], v[130:131]
	v_add_f64 v[120:121], v[132:133], -v[156:157]
	v_mul_f64 v[148:149], v[82:83], s[6:7]
	v_add_f64 v[122:123], v[130:131], -v[132:133]
	v_add_f64 v[130:131], v[114:115], -v[100:101]
	;; [unrolled: 1-line block ×4, first 2 shown]
	v_add_f64 v[62:63], v[76:77], v[62:63]
	v_mul_f64 v[76:77], v[106:107], s[24:25]
	v_mul_f64 v[106:107], v[108:109], s[8:9]
	v_add_f64 v[98:99], v[98:99], -v[116:117]
	v_add_f64 v[88:89], v[128:129], v[88:89]
	v_mul_f64 v[128:129], v[110:111], s[8:9]
	v_add_f64 v[116:117], v[116:117], v[124:125]
	v_add_f64 v[90:91], v[94:95], -v[90:91]
	v_add_f64 v[94:95], v[134:135], v[152:153]
	v_mul_f64 v[2:3], v[2:3], s[24:25]
	v_mul_f64 v[152:153], v[6:7], s[8:9]
	v_add_f64 v[134:135], v[86:87], v[68:69]
	v_add_f64 v[158:159], v[60:61], v[64:65]
	v_mul_f64 v[118:119], v[118:119], s[16:17]
	v_fma_f64 v[124:125], v[80:81], s[18:19], v[78:79]
	v_fma_f64 v[78:79], v[82:83], s[6:7], -v[78:79]
	s_clause 0x1
	buffer_load_dword v82, off, s[36:39], 0 offset:124
	buffer_load_dword v83, off, s[36:39], 0 offset:128
	v_fma_f64 v[80:81], v[80:81], s[20:21], -v[148:149]
	s_clause 0x1
	buffer_load_dword v148, off, s[36:39], 0 offset:116
	buffer_load_dword v149, off, s[36:39], 0 offset:120
	v_add_f64 v[112:113], v[112:113], v[132:133]
	v_mul_f64 v[132:133], v[122:123], s[6:7]
	v_add_f64 v[146:147], v[86:87], -v[68:69]
	v_add_f64 v[68:69], v[68:69], -v[92:93]
	v_fma_f64 v[108:109], v[108:109], s[8:9], v[76:77]
	v_fma_f64 v[106:107], v[96:97], s[26:27], -v[106:107]
	v_fma_f64 v[76:77], v[96:97], s[28:29], -v[76:77]
	v_add_f64 v[86:87], v[92:93], -v[86:87]
	v_add_f64 v[162:163], v[60:61], -v[64:65]
	;; [unrolled: 1-line block ×4, first 2 shown]
	v_add_f64 v[94:95], v[154:155], v[94:95]
	v_fma_f64 v[6:7], v[6:7], s[8:9], v[2:3]
	v_fma_f64 v[2:3], v[74:75], s[28:29], -v[2:3]
	v_fma_f64 v[74:75], v[74:75], s[26:27], -v[152:153]
	v_add_f64 v[92:93], v[92:93], v[134:135]
	v_fma_f64 v[96:97], v[120:121], s[18:19], v[118:119]
	v_fma_f64 v[118:119], v[122:123], s[6:7], -v[118:119]
	v_fma_f64 v[122:123], v[126:127], s[26:27], -v[128:129]
	s_clause 0x1
	buffer_load_dword v128, off, s[36:39], 0 offset:140
	buffer_load_dword v129, off, s[36:39], 0 offset:144
	v_add_f64 v[154:155], v[90:91], v[84:85]
	v_add_f64 v[84:85], v[84:85], -v[66:67]
	v_add_f64 v[60:61], v[72:73], -v[60:61]
	;; [unrolled: 1-line block ×3, first 2 shown]
	v_add_f64 v[72:73], v[72:73], v[158:159]
	v_add_f64 v[166:167], v[56:57], v[58:59]
	v_add_f64 v[58:59], v[58:59], -v[70:71]
	v_mul_f64 v[98:99], v[98:99], s[24:25]
	v_mul_f64 v[130:131], v[130:131], s[16:17]
	v_fma_f64 v[78:79], v[62:63], s[22:23], v[78:79]
	v_mul_f64 v[134:135], v[100:101], s[6:7]
	v_fma_f64 v[124:125], v[62:63], s[22:23], v[124:125]
	v_fma_f64 v[62:63], v[62:63], s[22:23], v[80:81]
	v_add_f64 v[90:91], v[66:67], -v[90:91]
	v_mul_f64 v[68:69], v[68:69], s[24:25]
	v_mul_f64 v[80:81], v[86:87], s[8:9]
	v_add_f64 v[56:57], v[70:71], -v[56:57]
	v_add_f64 v[136:137], v[136:137], v[92:93]
	v_mul_f64 v[64:65], v[64:65], s[24:25]
	v_fma_f64 v[120:121], v[120:121], s[20:21], -v[132:133]
	s_waitcnt vmcnt(0) lgkmcnt(0)
	s_waitcnt_vscnt null, 0x0
	s_barrier
	v_add_f64 v[66:67], v[154:155], v[66:67]
	v_mul_f64 v[152:153], v[84:85], s[6:7]
	buffer_gl0_inv
	v_mul_f64 v[158:159], v[168:169], s[16:17]
	v_add_f64 v[70:71], v[166:167], v[70:71]
	v_mul_f64 v[160:161], v[58:59], s[6:7]
	v_fma_f64 v[110:111], v[110:111], s[8:9], v[98:99]
	v_fma_f64 v[86:87], v[86:87], s[8:9], v[68:69]
	v_fma_f64 v[80:81], v[146:147], s[26:27], -v[80:81]
	v_fma_f64 v[68:69], v[146:147], s[28:29], -v[68:69]
	v_fma_f64 v[92:93], v[92:93], s[14:15], v[136:137]
	v_fma_f64 v[58:59], v[58:59], s[6:7], -v[158:159]
	v_add_f64 v[86:87], v[86:87], v[92:93]
	v_add_f64 v[80:81], v[80:81], v[92:93]
	;; [unrolled: 1-line block ×3, first 2 shown]
	v_fma_f64 v[58:59], v[70:71], s[22:23], v[58:59]
	v_add_f64 v[150:151], v[150:151], v[102:103]
	v_fma_f64 v[102:103], v[102:103], s[14:15], v[150:151]
	v_add_f64 v[82:83], v[82:83], v[94:95]
	v_add_f64 v[148:149], v[148:149], v[116:117]
	;; [unrolled: 1-line block ×5, first 2 shown]
	v_mul_f64 v[102:103], v[156:157], s[16:17]
	v_mul_f64 v[156:157], v[60:61], s[8:9]
	v_fma_f64 v[60:61], v[60:61], s[8:9], v[64:65]
	v_fma_f64 v[64:65], v[162:163], s[28:29], -v[64:65]
	v_add_f64 v[128:129], v[128:129], v[72:73]
	v_fma_f64 v[94:95], v[94:95], s[14:15], v[82:83]
	v_fma_f64 v[116:117], v[116:117], s[14:15], v[148:149]
	v_add_f64 v[168:169], v[78:79], v[74:75]
	v_add_f64 v[74:75], v[74:75], -v[78:79]
	v_fma_f64 v[78:79], v[114:115], s[18:19], v[130:131]
	v_add_f64 v[164:165], v[2:3], -v[62:63]
	v_add_f64 v[2:3], v[62:63], v[2:3]
	v_fma_f64 v[62:63], v[126:127], s[28:29], -v[98:99]
	v_fma_f64 v[98:99], v[100:101], s[6:7], -v[130:131]
	;; [unrolled: 1-line block ×3, first 2 shown]
	v_fma_f64 v[114:115], v[90:91], s[18:19], v[102:103]
	v_fma_f64 v[84:85], v[84:85], s[6:7], -v[102:103]
	v_fma_f64 v[90:91], v[90:91], s[20:21], -v[152:153]
	;; [unrolled: 1-line block ×3, first 2 shown]
	v_fma_f64 v[126:127], v[56:57], s[18:19], v[158:159]
	v_fma_f64 v[56:57], v[56:57], s[20:21], -v[160:161]
	v_add_f64 v[132:133], v[6:7], -v[124:125]
	v_add_f64 v[6:7], v[124:125], v[6:7]
	v_fma_f64 v[72:73], v[72:73], s[14:15], v[128:129]
	v_add_f64 v[108:109], v[108:109], v[94:95]
	v_add_f64 v[106:107], v[106:107], v[94:95]
	;; [unrolled: 1-line block ×3, first 2 shown]
	v_fma_f64 v[94:95], v[112:113], s[22:23], v[96:97]
	v_fma_f64 v[96:97], v[112:113], s[22:23], v[120:121]
	;; [unrolled: 1-line block ×3, first 2 shown]
	v_add_f64 v[110:111], v[110:111], v[116:117]
	v_fma_f64 v[78:79], v[88:89], s[22:23], v[78:79]
	v_add_f64 v[118:119], v[122:123], v[116:117]
	v_add_f64 v[62:63], v[62:63], v[116:117]
	v_fma_f64 v[100:101], v[88:89], s[22:23], v[100:101]
	v_fma_f64 v[88:89], v[88:89], s[22:23], v[98:99]
	;; [unrolled: 1-line block ×6, first 2 shown]
	v_add_f64 v[60:61], v[60:61], v[72:73]
	v_add_f64 v[84:85], v[102:103], v[72:73]
	;; [unrolled: 1-line block ×3, first 2 shown]
	v_fma_f64 v[72:73], v[70:71], s[22:23], v[126:127]
	v_add_f64 v[70:71], v[108:109], -v[94:95]
	v_add_f64 v[98:99], v[76:77], -v[96:97]
	v_add_f64 v[102:103], v[112:113], v[106:107]
	v_add_f64 v[106:107], v[106:107], -v[112:113]
	v_add_f64 v[76:77], v[96:97], v[76:77]
	v_add_f64 v[94:95], v[94:95], v[108:109]
	v_add_f64 v[96:97], v[110:111], -v[78:79]
	v_add_f64 v[108:109], v[62:63], -v[100:101]
	v_add_f64 v[112:113], v[88:89], v[118:119]
	v_add_f64 v[88:89], v[118:119], -v[88:89]
	v_add_f64 v[62:63], v[100:101], v[62:63]
	v_add_f64 v[78:79], v[78:79], v[110:111]
	;; [unrolled: 6-line block ×3, first 2 shown]
	v_add_f64 v[92:93], v[58:59], v[84:85]
	v_add_f64 v[90:91], v[64:65], -v[56:57]
	v_add_f64 v[86:87], v[60:61], -v[72:73]
	;; [unrolled: 1-line block ×3, first 2 shown]
	v_add_f64 v[56:57], v[56:57], v[64:65]
	v_add_f64 v[196:197], v[72:73], v[60:61]
	ds_write2_b64 v142, v[150:151], v[132:133] offset1:4
	ds_write2_b64 v142, v[164:165], v[168:169] offset0:8 offset1:12
	ds_write2_b64 v142, v[74:75], v[2:3] offset0:16 offset1:20
	ds_write_b64 v142, v[6:7] offset:192
	ds_write2_b64 v143, v[82:83], v[70:71] offset1:4
	ds_write2_b64 v143, v[98:99], v[102:103] offset0:8 offset1:12
	ds_write2_b64 v143, v[106:107], v[76:77] offset0:16 offset1:20
	ds_write_b64 v143, v[94:95] offset:192
	ds_write2_b64 v141, v[148:149], v[96:97] offset1:4
	ds_write2_b64 v141, v[108:109], v[112:113] offset0:8 offset1:12
	ds_write2_b64 v141, v[88:89], v[62:63] offset0:16 offset1:20
	ds_write_b64 v141, v[78:79] offset:192
	ds_write2_b64 v145, v[136:137], v[100:101] offset1:4
	ds_write2_b64 v145, v[110:111], v[114:115] offset0:8 offset1:12
	ds_write2_b64 v145, v[66:67], v[68:69] offset0:16 offset1:20
	ds_write_b64 v145, v[80:81] offset:192
	ds_write2_b64 v144, v[128:129], v[86:87] offset1:4
	ds_write2_b64 v144, v[90:91], v[92:93] offset0:8 offset1:12
	ds_write2_b64 v144, v[58:59], v[56:57] offset0:16 offset1:20
	ds_write_b64 v144, v[196:197] offset:192
	v_add_nc_u32_e32 v2, 0x1c00, v233
	s_waitcnt lgkmcnt(0)
	s_barrier
	buffer_gl0_inv
	v_add_nc_u32_e32 v3, 0x2000, v233
	ds_read2_b64 v[80:83], v2 offset0:84 offset1:140
	buffer_load_dword v2, off, s[36:39], 0 offset:12 ; 4-byte Folded Reload
	v_add_nc_u32_e32 v6, 0x2800, v233
	ds_read_b64 v[198:199], v233
	s_waitcnt vmcnt(0)
	ds_read_b64 v[200:201], v2
	ds_read2_b64 v[84:87], v3 offset0:68 offset1:124
	ds_read2_b64 v[76:79], v3 offset0:180 offset1:236
	;; [unrolled: 1-line block ×3, first 2 shown]
	s_clause 0x1
	buffer_load_dword v2, off, s[36:39], 0
	buffer_load_dword v3, off, s[36:39], 0 offset:4
	s_waitcnt vmcnt(1)
	ds_read_b64 v[206:207], v2
	s_waitcnt vmcnt(0)
	ds_read_b64 v[212:213], v3
	buffer_load_dword v2, off, s[36:39], 0 offset:28 ; 4-byte Folded Reload
	v_lshl_add_u32 v3, v236, 3, 0
	ds_read_b64 v[210:211], v3
	v_add_nc_u32_e32 v3, 0x1000, v233
	s_waitcnt vmcnt(0)
	ds_read_b64 v[208:209], v2
	v_lshl_add_u32 v2, v253, 3, 0
	ds_read_b64 v[202:203], v2
	v_lshl_add_u32 v2, v235, 3, 0
	ds_read_b64 v[204:205], v2
	v_add_nc_u32_e32 v2, 0x3000, v233
	ds_read2_b64 v[88:91], v6 offset0:148 offset1:204
	ds_read2_b64 v[56:59], v139 offset0:120 offset1:176
	;; [unrolled: 1-line block ×3, first 2 shown]
	v_add_nc_u32_e32 v6, 0x1800, v233
	ds_read2_b64 v[60:63], v3 offset0:104 offset1:160
	ds_read2_b64 v[96:99], v2 offset0:116 offset1:172
	ds_read2_b64 v[64:67], v138 offset0:88 offset1:144
	ds_read2_b64 v[100:103], v140 offset0:100 offset1:156
	ds_read2_b64 v[68:71], v6 offset0:72 offset1:128
	buffer_load_dword v2, off, s[36:39], 0 offset:20 ; 4-byte Folded Reload
	s_waitcnt vmcnt(0)
	ds_read_b64 v[214:215], v2
	ds_read_b64 v[216:217], v233 offset:15008
	s_and_saveexec_b32 s1, s0
	s_cbranch_execz .LBB0_23
; %bb.22:
	ds_read_b64 v[196:197], v233 offset:7616
	ds_read_b64 v[2:3], v233 offset:15456
	s_waitcnt lgkmcnt(0)
	buffer_store_dword v0, off, s[36:39], 0 offset:36 ; 4-byte Folded Spill
	buffer_store_dword v1, off, s[36:39], 0 offset:40 ; 4-byte Folded Spill
	;; [unrolled: 1-line block ×4, first 2 shown]
.LBB0_23:
	s_or_b32 exec_lo, exec_lo, s1
	v_subrev_nc_u32_e32 v2, 28, v226
	v_mov_b32_e32 v3, 0
	buffer_load_dword v118, off, s[36:39], 0 offset:8 ; 4-byte Folded Reload
	v_or_b32_e32 v109, 0x380, v226
	v_add_nc_u16 v111, v226, 0x3b8
	v_cndmask_b32_e64 v2, v2, v226, s0
	v_lshrrev_b16 v108, 2, v253
	buffer_load_dword v117, off, s[36:39], 0 offset:56 ; 4-byte Folded Reload
	v_lshrrev_b16 v110, 2, v109
	v_lshrrev_b16 v112, 2, v111
	v_lshlrev_b64 v[6:7], 4, v[2:3]
	v_mov_b32_e32 v3, 0x4925
	v_lshlrev_b32_e32 v2, 3, v2
	v_mul_u32_u24_sdwa v110, v110, v3 dst_sel:DWORD dst_unused:UNUSED_PAD src0_sel:WORD_0 src1_sel:DWORD
	v_add_co_u32 v106, s1, s12, v6
	v_lshrrev_b16 v6, 2, v235
	v_add_co_ci_u32_e64 v107, s1, s13, v7, s1
	v_lshrrev_b32_e32 v237, 17, v110
	v_mul_u32_u24_sdwa v108, v108, v3 dst_sel:DWORD dst_unused:UNUSED_PAD src0_sel:WORD_0 src1_sel:DWORD
	v_mul_u32_u24_sdwa v6, v6, v3 dst_sel:DWORD dst_unused:UNUSED_PAD src0_sel:WORD_0 src1_sel:DWORD
	v_cmp_lt_u32_e64 s1, 27, v226
	v_mul_lo_u16 v110, v237, 28
	v_lshrrev_b32_e32 v250, 17, v108
	v_lshrrev_b32_e32 v221, 17, v6
	v_sub_nc_u16 v238, v109, v110
	buffer_load_dword v110, off, s[36:39], 0 offset:52 ; 4-byte Folded Reload
	v_mul_lo_u16 v6, v221, 28
	v_lshrrev_b16 v109, 2, v239
	v_sub_nc_u16 v244, v235, v6
	v_lshrrev_b16 v6, 2, v236
	v_and_b32_e32 v109, 63, v109
	v_mul_u32_u24_sdwa v6, v6, v3 dst_sel:DWORD dst_unused:UNUSED_PAD src0_sel:WORD_0 src1_sel:DWORD
	v_mul_lo_u16 v109, v109, 37
	v_lshrrev_b32_e32 v225, 17, v6
	v_lshrrev_b16 v248, 8, v109
	v_mul_lo_u16 v6, v225, 28
	v_sub_nc_u16 v241, v236, v6
	v_add_nc_u16 v6, v226, 0x1f8
	v_lshrrev_b16 v7, 2, v6
	v_mul_u32_u24_sdwa v7, v7, v3 dst_sel:DWORD dst_unused:UNUSED_PAD src0_sel:WORD_0 src1_sel:DWORD
	v_lshrrev_b32_e32 v223, 17, v7
	v_mul_lo_u16 v7, v223, 28
	v_sub_nc_u16 v224, v6, v7
	v_add_nc_u16 v6, v226, 0x230
	v_lshrrev_b16 v7, 2, v6
	v_mul_u32_u24_sdwa v7, v7, v3 dst_sel:DWORD dst_unused:UNUSED_PAD src0_sel:WORD_0 src1_sel:DWORD
	v_lshrrev_b32_e32 v218, 17, v7
	;; [unrolled: 6-line block ×7, first 2 shown]
	v_mul_lo_u16 v7, v235, 28
	v_sub_nc_u16 v236, v6, v7
	v_lshrrev_b16 v6, 2, v240
	v_mul_u32_u24_sdwa v6, v6, v3 dst_sel:DWORD dst_unused:UNUSED_PAD src0_sel:WORD_0 src1_sel:DWORD
	v_lshrrev_b32_e32 v246, 17, v6
	v_mov_b32_e32 v6, 4
	v_lshlrev_b32_sdwa v136, v6, v244 dst_sel:DWORD dst_unused:UNUSED_PAD src0_sel:DWORD src1_sel:WORD_0
	v_lshlrev_b32_sdwa v140, v6, v241 dst_sel:DWORD dst_unused:UNUSED_PAD src0_sel:DWORD src1_sel:WORD_0
	;; [unrolled: 1-line block ×10, first 2 shown]
	s_waitcnt vmcnt(2)
	v_lshrrev_b16 v7, 2, v118
	v_mul_u32_u24_sdwa v7, v7, v3 dst_sel:DWORD dst_unused:UNUSED_PAD src0_sel:WORD_0 src1_sel:DWORD
	v_mul_u32_u24_sdwa v3, v112, v3 dst_sel:DWORD dst_unused:UNUSED_PAD src0_sel:WORD_0 src1_sel:DWORD
	v_lshrrev_b32_e32 v249, 17, v7
	v_lshrrev_b32_e32 v3, 17, v3
	v_mul_lo_u16 v7, v246, 28
	v_mul_lo_u16 v3, v3, 28
	v_sub_nc_u16 v251, v240, v7
	v_mul_lo_u16 v7, v249, 28
	v_mov_b32_e32 v240, 0x1c0
	v_sub_nc_u16 v116, v111, v3
	v_cndmask_b32_e64 v3, 0, 0x1c0, s1
	v_sub_nc_u16 v252, v118, v7
	v_mul_lo_u16 v7, v250, 28
	v_add3_u32 v242, 0, v3, v2
	s_waitcnt vmcnt(1)
	v_lshrrev_b16 v3, 2, v117
	v_sub_nc_u16 v253, v253, v7
	s_waitcnt vmcnt(0)
	v_lshrrev_b16 v2, 2, v110
	v_and_b32_e32 v3, 63, v3
	v_lshlrev_b32_sdwa v132, v6, v253 dst_sel:DWORD dst_unused:UNUSED_PAD src0_sel:DWORD src1_sel:WORD_0
	v_and_b32_e32 v2, 63, v2
	v_mul_lo_u16 v3, v3, 37
	v_mul_lo_u16 v2, v2, 37
	v_lshrrev_b16 v247, 8, v3
	v_lshrrev_b16 v243, 8, v2
	v_mul_lo_u16 v7, v247, 28
	v_mul_lo_u16 v2, v243, 28
	v_sub_nc_u16 v254, v117, v7
	v_mul_lo_u16 v7, v248, 28
	v_sub_nc_u16 v245, v110, v2
	v_sub_nc_u16 v255, v239, v7
	v_and_b32_e32 v239, 0xffff, v116
	v_lshlrev_b32_sdwa v2, v6, v245 dst_sel:DWORD dst_unused:UNUSED_PAD src0_sel:DWORD src1_sel:BYTE_0
	s_clause 0x1
	global_load_dwordx4 v[108:111], v[106:107], off offset:384
	global_load_dwordx4 v[112:115], v2, s[12:13] offset:384
	v_lshlrev_b32_sdwa v116, v6, v254 dst_sel:DWORD dst_unused:UNUSED_PAD src0_sel:DWORD src1_sel:BYTE_0
	v_lshlrev_b32_sdwa v120, v6, v255 dst_sel:DWORD dst_unused:UNUSED_PAD src0_sel:DWORD src1_sel:BYTE_0
	v_lshlrev_b32_sdwa v106, v6, v251 dst_sel:DWORD dst_unused:UNUSED_PAD src0_sel:DWORD src1_sel:WORD_0
	v_lshlrev_b32_sdwa v107, v6, v252 dst_sel:DWORD dst_unused:UNUSED_PAD src0_sel:DWORD src1_sel:WORD_0
	s_waitcnt vmcnt(1) lgkmcnt(21)
	v_mul_f64 v[2:3], v[80:81], v[110:111]
	v_fma_f64 v[2:3], v[28:29], v[108:109], -v[2:3]
	v_add_f64 v[2:3], v[104:105], -v[2:3]
	v_fma_f64 v[6:7], v[104:105], 2.0, -v[2:3]
	v_lshlrev_b32_e32 v104, 4, v239
	s_clause 0xf
	global_load_dwordx4 v[116:119], v116, s[12:13] offset:384
	global_load_dwordx4 v[120:123], v120, s[12:13] offset:384
	;; [unrolled: 1-line block ×16, first 2 shown]
	s_waitcnt vmcnt(0) lgkmcnt(0)
	s_waitcnt_vscnt null, 0x0
	s_barrier
	buffer_gl0_inv
	ds_write2_b64 v242, v[6:7], v[2:3] offset1:28
	v_mul_u32_u24_sdwa v2, v243, v240 dst_sel:DWORD dst_unused:UNUSED_PAD src0_sel:WORD_0 src1_sel:DWORD
	v_mov_b32_e32 v243, 3
	v_lshlrev_b32_sdwa v3, v243, v245 dst_sel:DWORD dst_unused:UNUSED_PAD src0_sel:DWORD src1_sel:BYTE_0
	v_add3_u32 v245, 0, v2, v3
	v_mul_f64 v[2:3], v[82:83], v[114:115]
	v_fma_f64 v[2:3], v[30:31], v[112:113], -v[2:3]
	v_add_f64 v[2:3], v[194:195], -v[2:3]
	v_fma_f64 v[6:7], v[194:195], 2.0, -v[2:3]
	ds_write2_b64 v245, v[6:7], v[2:3] offset1:28
	v_mul_u32_u24_sdwa v2, v247, v240 dst_sel:DWORD dst_unused:UNUSED_PAD src0_sel:WORD_0 src1_sel:DWORD
	v_lshlrev_b32_sdwa v3, v243, v254 dst_sel:DWORD dst_unused:UNUSED_PAD src0_sel:DWORD src1_sel:BYTE_0
	v_add3_u32 v194, 0, v2, v3
	v_mul_f64 v[2:3], v[84:85], v[118:119]
	v_fma_f64 v[2:3], v[20:21], v[116:117], -v[2:3]
	v_add_f64 v[2:3], v[192:193], -v[2:3]
	v_fma_f64 v[6:7], v[192:193], 2.0, -v[2:3]
	v_lshl_add_u32 v193, v239, 3, 0
	ds_write2_b64 v194, v[6:7], v[2:3] offset1:28
	v_mul_u32_u24_sdwa v2, v248, v240 dst_sel:DWORD dst_unused:UNUSED_PAD src0_sel:WORD_0 src1_sel:DWORD
	v_lshlrev_b32_sdwa v3, v243, v255 dst_sel:DWORD dst_unused:UNUSED_PAD src0_sel:DWORD src1_sel:BYTE_0
	v_add3_u32 v192, 0, v2, v3
	v_mul_f64 v[2:3], v[86:87], v[122:123]
	v_fma_f64 v[2:3], v[22:23], v[120:121], -v[2:3]
	v_add_f64 v[2:3], v[190:191], -v[2:3]
	v_fma_f64 v[6:7], v[190:191], 2.0, -v[2:3]
	ds_write2_b64 v192, v[6:7], v[2:3] offset1:28
	v_mul_u32_u24_e32 v2, 0x1c0, v246
	v_lshlrev_b32_sdwa v3, v243, v251 dst_sel:DWORD dst_unused:UNUSED_PAD src0_sel:DWORD src1_sel:WORD_0
	v_add3_u32 v190, 0, v2, v3
	v_mul_f64 v[2:3], v[76:77], v[126:127]
	v_fma_f64 v[2:3], v[36:37], v[124:125], -v[2:3]
	v_add_f64 v[2:3], v[188:189], -v[2:3]
	v_fma_f64 v[6:7], v[188:189], 2.0, -v[2:3]
	ds_write2_b64 v190, v[6:7], v[2:3] offset1:28
	v_mul_u32_u24_e32 v2, 0x1c0, v249
	v_lshlrev_b32_sdwa v3, v243, v252 dst_sel:DWORD dst_unused:UNUSED_PAD src0_sel:DWORD src1_sel:WORD_0
	;; [unrolled: 8-line block ×6, first 2 shown]
	v_add3_u32 v180, 0, v2, v3
	v_mul_f64 v[2:3], v[90:91], v[146:147]
	v_fma_f64 v[2:3], v[26:27], v[144:145], -v[2:3]
	v_add_f64 v[2:3], v[52:53], -v[2:3]
	v_fma_f64 v[6:7], v[52:53], 2.0, -v[2:3]
	v_mul_u32_u24_e32 v52, 0x1c0, v218
	v_lshlrev_b32_sdwa v53, v243, v219 dst_sel:DWORD dst_unused:UNUSED_PAD src0_sel:DWORD src1_sel:WORD_0
	v_add3_u32 v181, 0, v52, v53
	ds_write2_b64 v180, v[6:7], v[2:3] offset1:28
	v_mul_f64 v[2:3], v[92:93], v[150:151]
	v_fma_f64 v[2:3], v[16:17], v[148:149], -v[2:3]
	v_add_f64 v[2:3], v[54:55], -v[2:3]
	v_fma_f64 v[6:7], v[54:55], 2.0, -v[2:3]
	ds_write2_b64 v181, v[6:7], v[2:3] offset1:28
	v_mul_u32_u24_e32 v2, 0x1c0, v220
	v_lshlrev_b32_sdwa v3, v243, v222 dst_sel:DWORD dst_unused:UNUSED_PAD src0_sel:DWORD src1_sel:WORD_0
	v_add3_u32 v183, 0, v2, v3
	v_mul_f64 v[2:3], v[94:95], v[154:155]
	v_fma_f64 v[2:3], v[18:19], v[152:153], -v[2:3]
	v_add_f64 v[2:3], v[48:49], -v[2:3]
	v_fma_f64 v[6:7], v[48:49], 2.0, -v[2:3]
	v_mul_u32_u24_e32 v48, 0x1c0, v227
	v_lshlrev_b32_sdwa v49, v243, v228 dst_sel:DWORD dst_unused:UNUSED_PAD src0_sel:DWORD src1_sel:WORD_0
	v_add3_u32 v185, 0, v48, v49
	ds_write2_b64 v183, v[6:7], v[2:3] offset1:28
	v_mul_f64 v[2:3], v[96:97], v[158:159]
	v_fma_f64 v[2:3], v[8:9], v[156:157], -v[2:3]
	v_add_f64 v[2:3], v[50:51], -v[2:3]
	v_fma_f64 v[6:7], v[50:51], 2.0, -v[2:3]
	ds_write2_b64 v185, v[6:7], v[2:3] offset1:28
	v_mul_u32_u24_e32 v2, 0x1c0, v229
	v_lshlrev_b32_sdwa v3, v243, v230 dst_sel:DWORD dst_unused:UNUSED_PAD src0_sel:DWORD src1_sel:WORD_0
	;; [unrolled: 16-line block ×3, first 2 shown]
	v_add3_u32 v191, 0, v2, v3
	v_mul_f64 v[2:3], v[102:103], v[170:171]
	v_fma_f64 v[2:3], v[14:15], v[168:169], -v[2:3]
	v_add_f64 v[2:3], v[40:41], -v[2:3]
	v_fma_f64 v[6:7], v[40:41], 2.0, -v[2:3]
	v_lshlrev_b32_sdwa v40, v243, v238 dst_sel:DWORD dst_unused:UNUSED_PAD src0_sel:DWORD src1_sel:WORD_0
	v_mul_u32_u24_e32 v41, 0x1c0, v237
	v_add3_u32 v195, 0, v41, v40
	ds_write2_b64 v191, v[6:7], v[2:3] offset1:28
	v_mul_f64 v[2:3], v[216:217], v[174:175]
	v_fma_f64 v[2:3], v[4:5], v[172:173], -v[2:3]
	v_add_f64 v[2:3], v[42:43], -v[2:3]
	v_fma_f64 v[6:7], v[42:43], 2.0, -v[2:3]
	ds_write2_b64 v195, v[6:7], v[2:3] offset1:28
	s_and_saveexec_b32 s1, s0
	s_cbranch_execz .LBB0_25
; %bb.24:
	s_clause 0x3
	buffer_load_dword v40, off, s[36:39], 0 offset:36
	buffer_load_dword v41, off, s[36:39], 0 offset:40
	;; [unrolled: 1-line block ×4, first 2 shown]
	v_add_nc_u32_e32 v6, 0x3800, v193
	s_waitcnt vmcnt(0)
	v_mul_f64 v[2:3], v[42:43], v[106:107]
	s_clause 0x3
	buffer_load_dword v40, off, s[36:39], 0 offset:68
	buffer_load_dword v41, off, s[36:39], 0 offset:72
	;; [unrolled: 1-line block ×4, first 2 shown]
	s_waitcnt vmcnt(0)
	v_fma_f64 v[2:3], v[42:43], v[104:105], -v[2:3]
	v_add_f64 v[2:3], v[0:1], -v[2:3]
	v_fma_f64 v[0:1], v[0:1], 2.0, -v[2:3]
	ds_write2_b64 v6, v[0:1], v[2:3] offset0:112 offset1:140
.LBB0_25:
	s_or_b32 exec_lo, exec_lo, s1
	v_mul_f64 v[26:27], v[26:27], v[146:147]
	v_mul_f64 v[16:17], v[16:17], v[150:151]
	;; [unrolled: 1-line block ×15, first 2 shown]
	s_waitcnt lgkmcnt(0)
	s_barrier
	buffer_gl0_inv
	v_mul_f64 v[4:5], v[4:5], v[174:175]
	v_mul_f64 v[10:11], v[10:11], v[162:163]
	v_fma_f64 v[26:27], v[90:91], v[144:145], v[26:27]
	v_fma_f64 v[16:17], v[92:93], v[148:149], v[16:17]
	;; [unrolled: 1-line block ×7, first 2 shown]
	v_add_nc_u32_e32 v80, 0x1800, v233
	v_add_nc_u32_e32 v81, 0x3000, v233
	v_fma_f64 v[22:23], v[76:77], v[124:125], v[22:23]
	v_fma_f64 v[28:29], v[78:79], v[128:129], v[28:29]
	v_add_nc_u32_e32 v76, 0x1000, v233
	v_add_nc_u32_e32 v78, 0x2000, v233
	;; [unrolled: 1-line block ×4, first 2 shown]
	v_fma_f64 v[2:3], v[82:83], v[112:113], v[2:3]
	v_fma_f64 v[6:7], v[84:85], v[116:117], v[6:7]
	;; [unrolled: 1-line block ×7, first 2 shown]
	v_add_f64 v[100:101], v[56:57], -v[26:27]
	v_add_f64 v[102:103], v[58:59], -v[16:17]
	;; [unrolled: 1-line block ×7, first 2 shown]
	v_fma_f64 v[32:33], v[74:75], v[136:137], v[32:33]
	v_add_nc_u32_e32 v87, 0x2400, v233
	v_add_nc_u32_e32 v1, 0x3800, v233
	;; [unrolled: 1-line block ×3, first 2 shown]
	v_add_f64 v[90:91], v[208:209], -v[22:23]
	v_add_f64 v[92:93], v[212:213], -v[28:29]
	v_mov_b32_e32 v234, v1
	v_add_f64 v[2:3], v[214:215], -v[2:3]
	v_add_f64 v[6:7], v[200:201], -v[6:7]
	;; [unrolled: 1-line block ×7, first 2 shown]
	v_fma_f64 v[138:139], v[56:57], 2.0, -v[100:101]
	v_fma_f64 v[140:141], v[58:59], 2.0, -v[102:103]
	v_fma_f64 v[142:143], v[60:61], 2.0, -v[108:109]
	v_fma_f64 v[144:145], v[62:63], 2.0, -v[110:111]
	v_fma_f64 v[148:149], v[66:67], 2.0, -v[114:115]
	ds_read_b64 v[66:67], v233
	ds_read2_b64 v[60:63], v76 offset0:48 offset1:104
	ds_read2_b64 v[48:51], v80 offset0:16 offset1:72
	;; [unrolled: 1-line block ×8, first 2 shown]
	buffer_load_dword v0, off, s[36:39], 0 offset:12 ; 4-byte Folded Reload
	v_add_f64 v[96:97], v[204:205], -v[32:33]
	v_fma_f64 v[150:151], v[68:69], 2.0, -v[116:117]
	v_fma_f64 v[120:121], v[198:199], 2.0, -v[83:84]
	v_fma_f64 v[128:129], v[208:209], 2.0, -v[90:91]
	v_fma_f64 v[130:131], v[212:213], 2.0, -v[92:93]
	s_waitcnt vmcnt(0)
	ds_read_b64 v[4:5], v0
	ds_read2_b64 v[16:19], v76 offset0:160 offset1:216
	buffer_load_dword v0, off, s[36:39], 0  ; 4-byte Folded Reload
	v_fma_f64 v[146:147], v[64:65], 2.0, -v[112:113]
	ds_read2_b64 v[20:23], v87 offset0:80 offset1:136
	ds_read2_b64 v[8:11], v1 offset1:56
	v_fma_f64 v[122:123], v[214:215], 2.0, -v[2:3]
	v_fma_f64 v[124:125], v[200:201], 2.0, -v[6:7]
	;; [unrolled: 1-line block ×7, first 2 shown]
	s_waitcnt vmcnt(0)
	ds_read_b64 v[0:1], v0
	ds_read2_b64 v[32:35], v77 offset0:192 offset1:248
	ds_read2_b64 v[28:31], v86 offset0:112 offset1:168
	;; [unrolled: 1-line block ×3, first 2 shown]
	s_clause 0x1
	buffer_load_dword v64, off, s[36:39], 0 offset:4
	buffer_load_dword v68, off, s[36:39], 0 offset:20
	s_waitcnt vmcnt(1)
	ds_read_b64 v[74:75], v64
	buffer_load_dword v64, off, s[36:39], 0 offset:28 ; 4-byte Folded Reload
	s_waitcnt vmcnt(0)
	ds_read_b64 v[64:65], v64
	ds_read_b64 v[68:69], v68
	ds_read_b64 v[72:73], v233 offset:15232
	s_waitcnt lgkmcnt(0)
	s_barrier
	buffer_gl0_inv
	ds_write2_b64 v242, v[120:121], v[83:84] offset1:28
	ds_write2_b64 v245, v[122:123], v[2:3] offset1:28
	;; [unrolled: 1-line block ×17, first 2 shown]
	s_and_saveexec_b32 s1, s0
	s_cbranch_execz .LBB0_27
; %bb.26:
	s_clause 0x3
	buffer_load_dword v82, off, s[36:39], 0 offset:68
	buffer_load_dword v83, off, s[36:39], 0 offset:72
	;; [unrolled: 1-line block ×4, first 2 shown]
	v_add_nc_u32_e32 v70, 0x3800, v193
	s_waitcnt vmcnt(0)
	v_mul_f64 v[2:3], v[84:85], v[106:107]
	s_clause 0x3
	buffer_load_dword v82, off, s[36:39], 0 offset:36
	buffer_load_dword v83, off, s[36:39], 0 offset:40
	;; [unrolled: 1-line block ×4, first 2 shown]
	s_waitcnt vmcnt(0)
	v_fma_f64 v[2:3], v[84:85], v[104:105], v[2:3]
	v_add_f64 v[2:3], v[196:197], -v[2:3]
	v_fma_f64 v[6:7], v[196:197], 2.0, -v[2:3]
	ds_write2_b64 v70, v[6:7], v[2:3] offset0:112 offset1:140
.LBB0_27:
	s_or_b32 exec_lo, exec_lo, s1
	buffer_load_dword v253, off, s[36:39], 0 offset:64 ; 4-byte Folded Reload
	v_mov_b32_e32 v3, 0x2493
	s_waitcnt vmcnt(0) lgkmcnt(0)
	s_barrier
	buffer_gl0_inv
	buffer_load_dword v239, off, s[36:39], 0 offset:56 ; 4-byte Folded Reload
	v_mul_u32_u24_e32 v6, 6, v226
	v_mov_b32_e32 v84, v234
	s_mov_b32 s18, 0x37e14327
	s_mov_b32 s0, 0x36b3c0b5
	;; [unrolled: 1-line block ×18, first 2 shown]
	v_lshrrev_b16 v2, 3, v253
	v_mul_u32_u24_sdwa v2, v2, v3 dst_sel:DWORD dst_unused:UNUSED_PAD src0_sel:WORD_0 src1_sel:DWORD
	v_lshlrev_b32_e32 v3, 4, v6
	s_waitcnt vmcnt(0)
	v_lshrrev_b16 v6, 3, v239
	v_lshrrev_b32_e32 v2, 16, v2
	s_clause 0x2
	global_load_dwordx4 v[88:91], v3, s[12:13] offset:848
	global_load_dwordx4 v[92:95], v3, s[12:13] offset:880
	;; [unrolled: 1-line block ×3, first 2 shown]
	v_and_b32_e32 v6, 31, v6
	v_mul_lo_u16 v2, v2, 56
	v_mul_lo_u16 v6, v6, 37
	v_sub_nc_u16 v2, v253, v2
	v_and_b32_e32 v2, 0xffff, v2
	buffer_store_dword v2, off, s[36:39], 0 offset:36 ; 4-byte Folded Spill
	v_mul_u32_u24_e32 v2, 6, v2
	v_lshlrev_b32_e32 v2, 4, v2
	s_clause 0x3
	global_load_dwordx4 v[100:103], v3, s[12:13] offset:864
	global_load_dwordx4 v[104:107], v2, s[12:13] offset:848
	;; [unrolled: 1-line block ×4, first 2 shown]
	buffer_load_dword v240, off, s[36:39], 0 offset:60 ; 4-byte Folded Reload
	s_clause 0x1
	global_load_dwordx4 v[116:119], v3, s[12:13] offset:832
	global_load_dwordx4 v[128:131], v2, s[12:13] offset:912
	v_lshrrev_b16 v3, 8, v6
	v_mul_lo_u16 v3, v3, 56
	v_sub_nc_u16 v3, v239, v3
	v_and_b32_e32 v83, 0xff, v3
	v_mul_u32_u24_e32 v3, 6, v83
	v_lshlrev_b32_e32 v3, 4, v3
	s_clause 0x7
	global_load_dwordx4 v[120:123], v3, s[12:13] offset:832
	global_load_dwordx4 v[124:127], v3, s[12:13] offset:864
	;; [unrolled: 1-line block ×8, first 2 shown]
	s_waitcnt vmcnt(17)
	v_mul_f64 v[222:223], v[60:61], v[90:91]
	s_waitcnt vmcnt(16)
	v_mul_f64 v[229:230], v[56:57], v[94:95]
	;; [unrolled: 2-line block ×3, first 2 shown]
	s_waitcnt vmcnt(10)
	v_lshrrev_b16 v6, 3, v240
	s_waitcnt vmcnt(9)
	v_mul_f64 v[249:250], v[74:75], v[118:119]
	v_and_b32_e32 v6, 31, v6
	v_mul_lo_u16 v6, v6, 37
	v_lshrrev_b16 v6, 8, v6
	v_mul_lo_u16 v6, v6, 56
	v_sub_nc_u16 v6, v240, v6
	v_and_b32_e32 v85, 0xff, v6
	v_mul_u32_u24_e32 v2, 6, v85
	v_lshlrev_b32_e32 v2, 4, v2
	s_clause 0x6
	global_load_dwordx4 v[156:159], v3, s[12:13] offset:912
	global_load_dwordx4 v[160:163], v2, s[12:13] offset:832
	;; [unrolled: 1-line block ×7, first 2 shown]
	ds_read2_b64 v[188:191], v76 offset0:48 offset1:104
	ds_read2_b64 v[192:195], v78 offset0:96 offset1:152
	;; [unrolled: 1-line block ×3, first 2 shown]
	ds_read_b64 v[70:71], v233
	ds_read2_b64 v[200:203], v80 offset0:16 offset1:72
	ds_read2_b64 v[204:207], v79 offset0:64 offset1:120
	;; [unrolled: 1-line block ×5, first 2 shown]
	s_clause 0x2
	buffer_load_dword v254, off, s[36:39], 0
	buffer_load_dword v82, off, s[36:39], 0 offset:4
	buffer_load_dword v255, off, s[36:39], 0 offset:28
	s_waitcnt lgkmcnt(8)
	v_mul_f64 v[6:7], v[188:189], v[90:91]
	v_mul_f64 v[220:221], v[190:191], v[90:91]
	;; [unrolled: 1-line block ×3, first 2 shown]
	v_fma_f64 v[188:189], v[188:189], v[88:89], v[222:223]
	v_mul_f64 v[222:223], v[50:51], v[102:103]
	s_waitcnt lgkmcnt(3)
	v_mul_f64 v[245:246], v[206:207], v[110:111]
	v_mul_f64 v[224:225], v[192:193], v[94:95]
	;; [unrolled: 1-line block ×4, first 2 shown]
	v_fma_f64 v[192:193], v[192:193], v[92:93], v[229:230]
	v_mul_f64 v[229:230], v[204:205], v[114:115]
	v_mul_f64 v[227:228], v[194:195], v[94:95]
	;; [unrolled: 1-line block ×5, first 2 shown]
	v_fma_f64 v[196:197], v[196:197], v[96:97], v[241:242]
	s_waitcnt lgkmcnt(2)
	v_mul_f64 v[241:242], v[208:209], v[118:119]
	v_fma_f64 v[243:244], v[60:61], v[88:89], -v[6:7]
	v_fma_f64 v[220:221], v[62:63], v[88:89], -v[220:221]
	v_fma_f64 v[190:191], v[190:191], v[88:89], v[90:91]
	v_mul_f64 v[88:89], v[202:203], v[102:103]
	v_mul_f64 v[90:91], v[200:201], v[106:107]
	;; [unrolled: 1-line block ×3, first 2 shown]
	ds_read2_b64 v[60:63], v87 offset0:80 offset1:136
	v_fma_f64 v[231:232], v[52:53], v[96:97], -v[231:232]
	v_fma_f64 v[54:55], v[54:55], v[96:97], -v[237:238]
	v_mul_f64 v[237:238], v[46:47], v[110:111]
	v_fma_f64 v[52:53], v[44:45], v[112:113], -v[229:230]
	s_waitcnt lgkmcnt(1)
	v_mul_f64 v[229:230], v[216:217], v[110:111]
	v_mul_f64 v[110:111], v[12:13], v[110:111]
	v_fma_f64 v[224:225], v[56:57], v[92:93], -v[224:225]
	v_fma_f64 v[227:228], v[58:59], v[92:93], -v[227:228]
	v_fma_f64 v[194:195], v[194:195], v[92:93], v[94:95]
	ds_read2_b64 v[56:59], v76 offset0:160 offset1:216
	v_fma_f64 v[198:199], v[198:199], v[96:97], v[98:99]
	ds_read2_b64 v[95:98], v86 offset0:112 offset1:168
	v_fma_f64 v[112:113], v[204:205], v[112:113], v[114:115]
	v_fma_f64 v[251:252], v[50:51], v[100:101], -v[88:89]
	v_fma_f64 v[48:49], v[48:49], v[104:105], -v[90:91]
	v_fma_f64 v[50:51], v[200:201], v[104:105], v[106:107]
	v_fma_f64 v[200:201], v[202:203], v[100:101], v[222:223]
	v_fma_f64 v[222:223], v[46:47], v[108:109], -v[245:246]
	buffer_load_dword v245, off, s[36:39], 0 offset:12 ; 4-byte Folded Reload
	ds_read2_b64 v[87:90], v234 offset1:56
	buffer_load_dword v234, off, s[36:39], 0 offset:20 ; 4-byte Folded Reload
	v_mul_f64 v[106:107], v[212:213], v[102:103]
	ds_read2_b64 v[91:94], v77 offset0:192 offset1:248
	v_mul_f64 v[202:203], v[36:37], v[102:103]
	v_fma_f64 v[204:205], v[206:207], v[108:109], v[237:238]
	v_fma_f64 v[12:13], v[12:13], v[108:109], -v[229:230]
	v_fma_f64 v[108:109], v[216:217], v[108:109], v[110:111]
	s_waitcnt vmcnt(12)
	v_mul_f64 v[206:207], v[218:219], v[154:155]
	v_mul_f64 v[154:155], v[14:15], v[154:155]
	v_fma_f64 v[36:37], v[36:37], v[100:101], -v[106:107]
	v_mul_f64 v[106:107], v[214:215], v[126:127]
	v_mul_f64 v[126:127], v[38:39], v[126:127]
	v_fma_f64 v[99:100], v[212:213], v[100:101], v[202:203]
	v_fma_f64 v[14:15], v[14:15], v[152:153], -v[206:207]
	v_fma_f64 v[152:153], v[218:219], v[152:153], v[154:155]
	v_fma_f64 v[38:39], v[38:39], v[124:125], -v[106:107]
	s_waitcnt lgkmcnt(3)
	v_mul_f64 v[106:107], v[56:57], v[146:147]
	v_mul_f64 v[146:147], v[16:17], v[146:147]
	v_fma_f64 v[124:125], v[214:215], v[124:125], v[126:127]
	v_mul_f64 v[126:127], v[60:61], v[150:151]
	v_mul_f64 v[150:151], v[20:21], v[150:151]
	v_fma_f64 v[16:17], v[16:17], v[144:145], -v[106:107]
	v_fma_f64 v[56:57], v[56:57], v[144:145], v[146:147]
	v_fma_f64 v[20:21], v[20:21], v[148:149], -v[126:127]
	v_fma_f64 v[60:61], v[60:61], v[148:149], v[150:151]
	v_add_f64 v[148:149], v[243:244], v[222:223]
	v_add_f64 v[150:151], v[243:244], -v[222:223]
	s_waitcnt vmcnt(5) lgkmcnt(1)
	v_mul_f64 v[126:127], v[89:90], v[186:187]
	v_mul_f64 v[186:187], v[10:11], v[186:187]
	s_waitcnt vmcnt(4)
	ds_read_b64 v[2:3], v254
	s_waitcnt vmcnt(3)
	ds_read_b64 v[235:236], v82
	;; [unrolled: 2-line block ×3, first 2 shown]
	v_fma_f64 v[10:11], v[10:11], v[184:185], -v[126:127]
	s_waitcnt vmcnt(1)
	ds_read_b64 v[44:45], v245
	s_waitcnt lgkmcnt(2)
	v_mul_f64 v[247:248], v[235:236], v[118:119]
	v_mul_f64 v[118:119], v[40:41], v[118:119]
	s_waitcnt vmcnt(0)
	ds_read_b64 v[46:47], v234
	ds_read_b64 v[114:115], v233 offset:15232
	v_fma_f64 v[235:236], v[235:236], v[116:117], v[249:250]
	v_fma_f64 v[40:41], v[40:41], v[116:117], -v[241:242]
	ds_read2_b64 v[102:105], v81 offset0:32 offset1:88
	s_waitcnt lgkmcnt(0)
	s_waitcnt_vscnt null, 0x0
	s_barrier
	buffer_gl0_inv
	v_fma_f64 v[74:75], v[74:75], v[116:117], -v[247:248]
	v_fma_f64 v[116:117], v[208:209], v[116:117], v[118:119]
	v_mul_f64 v[118:119], v[210:211], v[122:123]
	v_mul_f64 v[122:123], v[42:43], v[122:123]
	;; [unrolled: 1-line block ×7, first 2 shown]
	v_add_f64 v[144:145], v[235:236], v[196:197]
	v_add_f64 v[146:147], v[235:236], -v[196:197]
	v_add_f64 v[196:197], v[220:221], v[12:13]
	v_add_f64 v[12:13], v[220:221], -v[12:13]
	v_fma_f64 v[42:43], v[42:43], v[120:121], -v[118:119]
	v_mul_f64 v[118:119], v[93:94], v[134:135]
	v_mul_f64 v[134:135], v[34:35], v[134:135]
	v_fma_f64 v[120:121], v[210:211], v[120:121], v[122:123]
	v_mul_f64 v[122:123], v[97:98], v[138:139]
	v_mul_f64 v[138:139], v[30:31], v[138:139]
	v_fma_f64 v[72:73], v[72:73], v[128:129], -v[110:111]
	v_mul_f64 v[110:111], v[87:88], v[158:159]
	v_fma_f64 v[114:115], v[114:115], v[128:129], v[130:131]
	v_mul_f64 v[128:129], v[8:9], v[158:159]
	v_mul_f64 v[130:131], v[91:92], v[162:163]
	;; [unrolled: 1-line block ×3, first 2 shown]
	v_fma_f64 v[26:27], v[26:27], v[140:141], -v[202:203]
	v_fma_f64 v[104:105], v[104:105], v[140:141], v[142:143]
	v_mul_f64 v[140:141], v[24:25], v[182:183]
	v_add_f64 v[142:143], v[74:75], v[231:232]
	v_add_f64 v[74:75], v[74:75], -v[231:232]
	v_add_f64 v[162:163], v[188:189], v[204:205]
	v_add_f64 v[182:183], v[200:201], v[192:193]
	v_fma_f64 v[24:25], v[24:25], v[180:181], -v[106:107]
	v_fma_f64 v[34:35], v[34:35], v[132:133], -v[118:119]
	v_fma_f64 v[93:94], v[93:94], v[132:133], v[134:135]
	v_mul_f64 v[118:119], v[58:59], v[166:167]
	v_mul_f64 v[132:133], v[18:19], v[166:167]
	v_fma_f64 v[30:31], v[30:31], v[136:137], -v[122:123]
	v_fma_f64 v[97:98], v[97:98], v[136:137], v[138:139]
	v_mul_f64 v[122:123], v[95:96], v[170:171]
	v_mul_f64 v[134:135], v[28:29], v[170:171]
	;; [unrolled: 1-line block ×4, first 2 shown]
	v_add_f64 v[166:167], v[188:189], -v[204:205]
	v_add_f64 v[170:171], v[251:252], v[224:225]
	v_add_f64 v[174:175], v[224:225], -v[251:252]
	v_add_f64 v[188:189], v[192:193], -v[200:201]
	v_add_f64 v[192:193], v[40:41], v[54:55]
	v_add_f64 v[40:41], v[40:41], -v[54:55]
	v_add_f64 v[54:55], v[116:117], v[198:199]
	;; [unrolled: 2-line block ×5, first 2 shown]
	v_add_f64 v[99:100], v[194:195], -v[99:100]
	v_fma_f64 v[8:9], v[8:9], v[156:157], -v[110:111]
	v_fma_f64 v[86:87], v[87:88], v[156:157], v[128:129]
	v_fma_f64 v[32:33], v[32:33], v[160:161], -v[130:131]
	v_fma_f64 v[91:92], v[91:92], v[160:161], v[158:159]
	;; [unrolled: 2-line block ×5, first 2 shown]
	v_fma_f64 v[101:102], v[102:103], v[180:181], v[140:141]
	v_fma_f64 v[88:89], v[89:90], v[184:185], v[186:187]
	v_add_f64 v[106:107], v[148:149], v[142:143]
	v_add_f64 v[110:111], v[162:163], v[144:145]
	v_add_f64 v[118:119], v[148:149], -v[142:143]
	v_add_f64 v[122:123], v[162:163], -v[144:145]
	;; [unrolled: 1-line block ×6, first 2 shown]
	v_add_f64 v[134:135], v[174:175], v[150:151]
	v_add_f64 v[136:137], v[188:189], v[166:167]
	v_add_f64 v[138:139], v[174:175], -v[150:151]
	v_add_f64 v[140:141], v[188:189], -v[166:167]
	v_add_f64 v[142:143], v[74:75], -v[174:175]
	v_add_f64 v[148:149], v[150:151], -v[74:75]
	v_add_f64 v[150:151], v[166:167], -v[146:147]
	v_add_f64 v[156:157], v[198:199], v[54:55]
	v_add_f64 v[162:163], v[192:193], -v[190:191]
	v_add_f64 v[164:165], v[190:191], -v[196:197]
	v_add_f64 v[168:169], v[36:37], v[12:13]
	v_add_f64 v[172:173], v[99:100], v[108:109]
	v_add_f64 v[174:175], v[36:37], -v[12:13]
	v_add_f64 v[180:181], v[99:100], -v[108:109]
	v_add_f64 v[184:185], v[34:35], v[72:73]
	;; [unrolled: 4-line block ×6, first 2 shown]
	v_add_f64 v[120:121], v[56:57], v[152:153]
	v_add_f64 v[144:145], v[146:147], -v[188:189]
	v_add_f64 v[154:155], v[196:197], v[192:193]
	v_add_f64 v[158:159], v[196:197], -v[192:193]
	v_add_f64 v[160:161], v[198:199], -v[54:55]
	;; [unrolled: 1-line block ×10, first 2 shown]
	v_add_f64 v[56:57], v[38:39], v[20:21]
	v_add_f64 v[152:153], v[124:125], v[60:61]
	v_add_f64 v[20:21], v[20:21], -v[38:39]
	v_add_f64 v[38:39], v[60:61], -v[124:125]
	v_add_f64 v[60:61], v[32:33], v[10:11]
	v_add_f64 v[124:125], v[91:92], v[88:89]
	v_add_f64 v[10:11], v[32:33], -v[10:11]
	v_add_f64 v[32:33], v[91:92], -v[88:89]
	;; [unrolled: 4-line block ×4, first 2 shown]
	v_add_f64 v[62:63], v[170:171], v[106:107]
	v_add_f64 v[95:96], v[182:183], v[110:111]
	;; [unrolled: 1-line block ×4, first 2 shown]
	v_mul_f64 v[110:111], v[126:127], s[18:19]
	v_mul_f64 v[126:127], v[128:129], s[18:19]
	;; [unrolled: 1-line block ×8, first 2 shown]
	v_add_f64 v[156:157], v[200:201], v[156:157]
	v_add_f64 v[40:41], v[168:169], v[40:41]
	;; [unrolled: 1-line block ×3, first 2 shown]
	v_mul_f64 v[162:163], v[162:163], s[18:19]
	v_mul_f64 v[168:169], v[164:165], s[0:1]
	;; [unrolled: 1-line block ×4, first 2 shown]
	v_add_f64 v[204:205], v[86:87], v[97:98]
	v_add_f64 v[206:207], v[120:121], v[112:113]
	;; [unrolled: 1-line block ×3, first 2 shown]
	v_mul_f64 v[54:55], v[54:55], s[18:19]
	v_mul_f64 v[170:171], v[166:167], s[0:1]
	;; [unrolled: 1-line block ×4, first 2 shown]
	v_add_f64 v[188:189], v[93:94], v[184:185]
	v_add_f64 v[190:191], v[114:115], v[186:187]
	v_add_f64 v[192:193], v[93:94], -v[184:185]
	v_add_f64 v[194:195], v[114:115], -v[186:187]
	;; [unrolled: 1-line block ×12, first 2 shown]
	v_add_f64 v[70:71], v[70:71], v[95:96]
	v_fma_f64 v[130:131], v[130:131], s[0:1], v[110:111]
	v_fma_f64 v[132:133], v[132:133], s[0:1], v[126:127]
	v_fma_f64 v[128:129], v[118:119], s[14:15], -v[128:129]
	v_fma_f64 v[134:135], v[122:123], s[14:15], -v[134:135]
	;; [unrolled: 1-line block ×4, first 2 shown]
	v_fma_f64 v[122:123], v[142:143], s[26:27], v[136:137]
	v_fma_f64 v[126:127], v[144:145], s[26:27], v[138:139]
	v_fma_f64 v[136:137], v[148:149], s[6:7], -v[136:137]
	v_fma_f64 v[138:139], v[150:151], s[6:7], -v[138:139]
	;; [unrolled: 1-line block ×4, first 2 shown]
	v_add_f64 v[144:145], v[46:47], v[156:157]
	v_fma_f64 v[46:47], v[164:165], s[0:1], v[162:163]
	v_fma_f64 v[148:149], v[158:159], s[14:15], -v[168:169]
	v_fma_f64 v[158:159], v[158:159], s[16:17], -v[162:163]
	v_fma_f64 v[162:163], v[99:100], s[26:27], v[174:175]
	v_add_f64 v[56:57], v[56:57], v[204:205]
	v_add_f64 v[152:153], v[152:153], v[206:207]
	v_add_f64 v[92:93], v[50:51], -v[93:94]
	v_add_f64 v[114:115], v[103:104], -v[114:115]
	;; [unrolled: 1-line block ×3, first 2 shown]
	v_add_f64 v[212:213], v[20:21], v[14:15]
	v_add_f64 v[214:215], v[38:39], v[16:17]
	v_add_f64 v[14:15], v[14:15], -v[8:9]
	v_add_f64 v[16:17], v[16:17], -v[42:43]
	v_add_f64 v[220:221], v[88:89], v[60:61]
	v_add_f64 v[222:223], v[90:91], v[124:125]
	;; [unrolled: 1-line block ×4, first 2 shown]
	v_fma_f64 v[146:147], v[166:167], s[0:1], v[54:55]
	v_fma_f64 v[150:151], v[160:161], s[14:15], -v[170:171]
	v_fma_f64 v[54:55], v[160:161], s[16:17], -v[54:55]
	v_fma_f64 v[160:161], v[36:37], s[26:27], v[172:173]
	v_fma_f64 v[12:13], v[12:13], s[6:7], -v[172:173]
	v_fma_f64 v[36:37], v[36:37], s[24:25], -v[180:181]
	;; [unrolled: 1-line block ×3, first 2 shown]
	v_add_f64 v[50:51], v[50:51], v[188:189]
	v_add_f64 v[103:104], v[103:104], v[190:191]
	v_mul_f64 v[164:165], v[184:185], s[18:19]
	v_mul_f64 v[166:167], v[186:187], s[18:19]
	;; [unrolled: 1-line block ×7, first 2 shown]
	v_fma_f64 v[94:95], v[95:96], s[8:9], v[70:71]
	v_fma_f64 v[126:127], v[105:106], s[20:21], v[126:127]
	;; [unrolled: 1-line block ×6, first 2 shown]
	v_add_f64 v[4:5], v[4:5], v[56:57]
	v_add_f64 v[162:163], v[44:45], v[152:153]
	v_add_f64 v[202:203], v[52:53], -v[48:49]
	v_add_f64 v[20:21], v[8:9], -v[20:21]
	v_add_f64 v[38:39], v[42:43], -v[38:39]
	v_add_f64 v[224:225], v[88:89], -v[60:61]
	v_add_f64 v[227:228], v[90:91], -v[124:125]
	v_add_f64 v[60:61], v[60:61], -v[58:59]
	v_add_f64 v[124:125], v[124:125], -v[101:102]
	v_add_f64 v[88:89], v[58:59], -v[88:89]
	v_add_f64 v[90:91], v[101:102], -v[90:91]
	v_add_f64 v[235:236], v[22:23], -v[18:19]
	v_add_f64 v[237:238], v[28:29], -v[24:25]
	v_fma_f64 v[107:108], v[108:109], s[6:7], -v[174:175]
	v_mul_f64 v[172:173], v[200:201], s[22:23]
	v_add_f64 v[8:9], v[212:213], v[8:9]
	v_add_f64 v[42:43], v[214:215], v[42:43]
	v_mul_f64 v[112:113], v[112:113], s[18:19]
	v_mul_f64 v[190:191], v[14:15], s[6:7]
	;; [unrolled: 1-line block ×3, first 2 shown]
	v_add_f64 v[58:59], v[58:59], v[220:221]
	v_add_f64 v[101:102], v[101:102], v[222:223]
	v_fma_f64 v[62:63], v[62:63], s[8:9], v[66:67]
	v_fma_f64 v[122:123], v[74:75], s[20:21], v[122:123]
	;; [unrolled: 1-line block ×9, first 2 shown]
	v_add_f64 v[160:161], v[6:7], v[103:104]
	v_fma_f64 v[6:7], v[86:87], s[0:1], v[97:98]
	v_fma_f64 v[86:87], v[208:209], s[14:15], -v[182:183]
	v_fma_f64 v[99:100], v[210:211], s[14:15], -v[184:185]
	;; [unrolled: 1-line block ×5, first 2 shown]
	v_add_f64 v[132:133], v[132:133], v[94:95]
	v_add_f64 v[118:119], v[118:119], v[94:95]
	;; [unrolled: 1-line block ×3, first 2 shown]
	v_fma_f64 v[56:57], v[56:57], s[8:9], v[4:5]
	v_fma_f64 v[134:135], v[152:153], s[8:9], v[162:163]
	v_add_f64 v[196:197], v[30:31], v[26:27]
	v_add_f64 v[198:199], v[52:53], v[48:49]
	v_add_f64 v[26:27], v[26:27], -v[34:35]
	v_add_f64 v[48:49], v[48:49], -v[72:73]
	v_add_f64 v[229:230], v[22:23], v[18:19]
	v_add_f64 v[231:232], v[28:29], v[24:25]
	v_add_f64 v[22:23], v[10:11], -v[22:23]
	v_add_f64 v[28:29], v[32:33], -v[28:29]
	;; [unrolled: 1-line block ×3, first 2 shown]
	v_mul_f64 v[174:175], v[202:203], s[22:23]
	v_mul_f64 v[60:61], v[60:61], s[18:19]
	;; [unrolled: 1-line block ×6, first 2 shown]
	v_fma_f64 v[107:108], v[116:117], s[20:21], v[107:108]
	v_fma_f64 v[44:45], v[120:121], s[0:1], v[112:113]
	v_fma_f64 v[112:113], v[210:211], s[16:17], -v[112:113]
	v_fma_f64 v[116:117], v[20:21], s[26:27], v[186:187]
	v_fma_f64 v[120:121], v[38:39], s[26:27], v[188:189]
	v_fma_f64 v[20:21], v[20:21], s[24:25], -v[190:191]
	v_fma_f64 v[38:39], v[38:39], s[24:25], -v[200:201]
	v_add_f64 v[0:1], v[0:1], v[58:59]
	v_add_f64 v[182:183], v[2:3], v[101:102]
	;; [unrolled: 1-line block ×9, first 2 shown]
	v_fma_f64 v[14:15], v[8:9], s[20:21], v[14:15]
	v_fma_f64 v[16:17], v[42:43], s[20:21], v[16:17]
	v_add_f64 v[6:7], v[6:7], v[56:57]
	v_add_f64 v[96:97], v[96:97], v[56:57]
	;; [unrolled: 1-line block ×4, first 2 shown]
	v_add_f64 v[30:31], v[34:35], -v[30:31]
	v_add_f64 v[52:53], v[72:73], -v[52:53]
	;; [unrolled: 1-line block ×3, first 2 shown]
	v_mul_f64 v[168:169], v[92:93], s[0:1]
	v_mul_f64 v[170:171], v[114:115], s[0:1]
	;; [unrolled: 1-line block ×3, first 2 shown]
	v_add_f64 v[10:11], v[229:230], v[10:11]
	v_add_f64 v[32:33], v[231:232], v[32:33]
	v_mul_f64 v[204:205], v[90:91], s[0:1]
	v_mul_f64 v[214:215], v[18:19], s[6:7]
	v_add_f64 v[64:65], v[64:65], v[50:51]
	v_fma_f64 v[2:3], v[88:89], s[0:1], v[60:61]
	v_fma_f64 v[88:89], v[90:91], s[0:1], v[124:125]
	v_fma_f64 v[90:91], v[224:225], s[14:15], -v[202:203]
	v_fma_f64 v[60:61], v[224:225], s[16:17], -v[60:61]
	v_add_f64 v[46:47], v[46:47], v[140:141]
	v_add_f64 v[140:141], v[158:159], v[140:141]
	v_fma_f64 v[116:117], v[8:9], s[20:21], v[116:117]
	v_fma_f64 v[120:121], v[42:43], s[20:21], v[120:121]
	;; [unrolled: 1-line block ×6, first 2 shown]
	v_add_f64 v[58:59], v[126:127], v[130:131]
	v_add_f64 v[101:102], v[132:133], -v[122:123]
	v_add_f64 v[142:143], v[105:106], v[109:110]
	v_add_f64 v[152:153], v[62:63], -v[138:139]
	v_add_f64 v[158:159], v[136:137], v[94:95]
	v_add_f64 v[62:63], v[138:139], v[62:63]
	v_add_f64 v[94:95], v[94:95], -v[136:137]
	v_add_f64 v[44:45], v[44:45], v[134:135]
	v_add_f64 v[111:112], v[112:113], v[134:135]
	v_add_f64 v[99:100], v[109:110], -v[105:106]
	v_add_f64 v[105:106], v[130:131], -v[126:127]
	v_add_f64 v[109:110], v[122:123], v[132:133]
	v_add_f64 v[122:123], v[128:129], -v[154:155]
	v_add_f64 v[130:131], v[54:55], -v[36:37]
	v_add_f64 v[134:135], v[12:13], v[148:149]
	v_add_f64 v[136:137], v[148:149], -v[12:13]
	v_add_f64 v[138:139], v[36:37], v[54:55]
	v_add_f64 v[128:129], v[154:155], v[128:129]
	v_add_f64 v[54:55], v[56:57], -v[16:17]
	v_add_f64 v[148:149], v[14:15], v[86:87]
	v_add_f64 v[16:17], v[16:17], v[56:57]
	v_add_f64 v[56:57], v[86:87], -v[14:15]
	v_mul_f64 v[14:15], v[26:27], s[6:7]
	v_fma_f64 v[86:87], v[22:23], s[26:27], v[206:207]
	v_fma_f64 v[154:155], v[28:29], s[26:27], v[212:213]
	v_fma_f64 v[184:185], v[227:228], s[14:15], -v[204:205]
	v_fma_f64 v[124:125], v[227:228], s[16:17], -v[124:125]
	v_add_f64 v[150:151], v[118:119], -v[74:75]
	v_add_f64 v[74:75], v[74:75], v[118:119]
	v_add_f64 v[118:119], v[156:157], v[46:47]
	v_add_f64 v[36:37], v[46:47], -v[156:157]
	v_fma_f64 v[18:19], v[18:19], s[6:7], -v[206:207]
	v_fma_f64 v[22:23], v[22:23], s[24:25], -v[214:215]
	v_add_f64 v[2:3], v[2:3], v[38:39]
	v_add_f64 v[88:89], v[88:89], v[42:43]
	;; [unrolled: 1-line block ×3, first 2 shown]
	v_fma_f64 v[50:51], v[50:51], s[8:9], v[64:65]
	v_fma_f64 v[92:93], v[92:93], s[0:1], v[164:165]
	v_fma_f64 v[156:157], v[192:193], s[14:15], -v[168:169]
	v_fma_f64 v[168:169], v[194:195], s[14:15], -v[170:171]
	v_fma_f64 v[170:171], v[52:53], s[26:27], v[174:175]
	v_fma_f64 v[186:187], v[30:31], s[26:27], v[172:173]
	v_fma_f64 v[52:53], v[52:53], s[24:25], -v[180:181]
	v_add_f64 v[132:133], v[146:147], -v[107:108]
	v_fma_f64 v[14:15], v[30:31], s[24:25], -v[14:15]
	v_fma_f64 v[30:31], v[48:49], s[6:7], -v[174:175]
	v_add_f64 v[48:49], v[90:91], v[38:39]
	v_add_f64 v[38:39], v[60:61], v[38:39]
	v_fma_f64 v[60:61], v[32:33], s[20:21], v[154:155]
	v_fma_f64 v[86:87], v[10:11], s[20:21], v[86:87]
	v_add_f64 v[107:108], v[107:108], v[146:147]
	v_add_f64 v[146:147], v[111:112], -v[8:9]
	v_add_f64 v[90:91], v[184:185], v[42:43]
	v_add_f64 v[42:43], v[124:125], v[42:43]
	v_fma_f64 v[22:23], v[10:11], s[20:21], v[22:23]
	v_fma_f64 v[10:11], v[10:11], s[20:21], v[18:19]
	ds_write2_b64 v233, v[66:67], v[58:59] offset1:56
	ds_write2_b64 v233, v[142:143], v[152:153] offset0:112 offset1:168
	v_mov_b32_e32 v205, v82
	v_add_f64 v[126:127], v[40:41], v[140:141]
	v_add_f64 v[18:19], v[92:93], v[50:51]
	v_add_f64 v[92:93], v[156:157], v[50:51]
	v_add_f64 v[12:13], v[140:141], -v[40:41]
	v_fma_f64 v[124:125], v[72:73], s[20:21], v[170:171]
	v_add_f64 v[40:41], v[120:121], v[6:7]
	v_fma_f64 v[52:53], v[72:73], s[20:21], v[52:53]
	v_lshl_add_u32 v58, v83, 3, 0
	v_add_nc_u32_e32 v98, 0xc00, v233
	v_fma_f64 v[30:31], v[72:73], s[20:21], v[30:31]
	v_add_f64 v[72:73], v[8:9], v[111:112]
	v_mul_f64 v[216:217], v[24:25], s[6:7]
	v_add_f64 v[8:9], v[60:61], v[2:3]
	v_add_f64 v[156:157], v[88:89], -v[86:87]
	v_add_f64 v[2:3], v[2:3], -v[60:61]
	v_add_f64 v[60:61], v[86:87], v[88:89]
	v_add_nc_u32_e32 v89, 0x400, v233
	ds_write2_b64 v89, v[62:63], v[99:100] offset0:96 offset1:152
	ds_write2_b64 v77, v[105:106], v[68:69] offset0:80 offset1:136
	buffer_load_dword v82, off, s[36:39], 0 offset:112 ; 4-byte Folded Reload
	v_add_nc_u32_e32 v59, 0x1800, v58
	v_fma_f64 v[24:25], v[24:25], s[6:7], -v[212:213]
	v_fma_f64 v[164:165], v[192:193], s[16:17], -v[164:165]
	v_add_f64 v[34:35], v[196:197], v[34:35]
	v_fma_f64 v[103:104], v[103:104], s[8:9], v[160:161]
	v_fma_f64 v[113:114], v[114:115], s[0:1], v[166:167]
	v_fma_f64 v[26:27], v[26:27], s[6:7], -v[172:173]
	v_fma_f64 v[166:167], v[194:195], s[16:17], -v[166:167]
	v_add_f64 v[140:141], v[44:45], -v[116:117]
	v_add_f64 v[46:47], v[20:21], v[96:97]
	v_fma_f64 v[28:29], v[28:29], s[24:25], -v[216:217]
	v_add_f64 v[20:21], v[96:97], -v[20:21]
	v_add_f64 v[111:112], v[116:117], v[44:45]
	v_add_f64 v[6:7], v[6:7], -v[120:121]
	v_lshl_add_u32 v62, v85, 3, 0
	v_add_nc_u32_e32 v63, 0x1c00, v58
	v_add_nc_u32_e32 v88, 0x1400, v233
	;; [unrolled: 1-line block ×3, first 2 shown]
	v_mov_b32_e32 v201, v245
	v_add_nc_u32_e32 v68, 0x2800, v62
	v_add_nc_u32_e32 v66, 0x2000, v62
	v_mov_b32_e32 v200, v234
	v_mov_b32_e32 v203, v255
	v_fma_f64 v[24:25], v[32:33], s[20:21], v[24:25]
	v_add_f64 v[50:51], v[164:165], v[50:51]
	v_fma_f64 v[14:15], v[34:35], s[20:21], v[14:15]
	v_fma_f64 v[154:155], v[34:35], s[20:21], v[186:187]
	v_add_f64 v[164:165], v[42:43], -v[22:23]
	v_fma_f64 v[26:27], v[34:35], s[20:21], v[26:27]
	v_mov_b32_e32 v202, v254
	v_fma_f64 v[28:29], v[32:33], s[20:21], v[28:29]
	v_add_f64 v[32:33], v[113:114], v[103:104]
	v_add_f64 v[113:114], v[168:169], v[103:104]
	;; [unrolled: 1-line block ×4, first 2 shown]
	v_add_f64 v[90:91], v[90:91], -v[10:11]
	v_add_f64 v[168:169], v[22:23], v[42:43]
	v_add_f64 v[22:23], v[124:125], v[18:19]
	v_add_f64 v[44:45], v[48:49], -v[24:25]
	v_add_f64 v[24:25], v[24:25], v[48:49]
	v_add_f64 v[34:35], v[28:29], v[38:39]
	v_add_f64 v[10:11], v[38:39], -v[28:29]
	v_add_f64 v[28:29], v[52:53], v[50:51]
	v_add_f64 v[38:39], v[92:93], -v[30:31]
	v_add_f64 v[174:175], v[26:27], v[113:114]
	v_add_f64 v[30:31], v[30:31], v[92:93]
	v_add_f64 v[180:181], v[113:114], -v[26:27]
	v_add_f64 v[26:27], v[50:51], -v[52:53]
	;; [unrolled: 1-line block ×3, first 2 shown]
	v_add_f64 v[103:104], v[14:15], v[103:104]
	v_add_f64 v[14:15], v[18:19], -v[124:125]
	v_add_nc_u32_e32 v92, 0x2c00, v233
	v_add_f64 v[170:171], v[32:33], -v[154:155]
	v_add_f64 v[124:125], v[154:155], v[32:33]
	s_waitcnt vmcnt(0)
	ds_write_b64 v82, v[118:119]
	ds_write2_b64 v98, v[126:127], v[132:133] offset0:120 offset1:176
	ds_write2_b64 v76, v[107:108], v[12:13] offset0:104 offset1:160
	ds_write_b64 v233, v[36:37] offset:5824
	ds_write2_b64 v59, v[4:5], v[40:41] offset0:16 offset1:72
	buffer_load_dword v4, off, s[36:39], 0 offset:36 ; 4-byte Folded Reload
	ds_write2_b64 v59, v[46:47], v[54:55] offset0:128 offset1:184
	ds_write2_b64 v63, v[16:17], v[20:21] offset0:112 offset1:168
	ds_write_b64 v58, v[6:7] offset:8960
	ds_write2_b64 v66, v[0:1], v[8:9] offset0:152 offset1:208
	ds_write2_b64 v68, v[34:35], v[44:45] offset0:8 offset1:64
	s_waitcnt vmcnt(0)
	v_lshl_add_u32 v67, v4, 3, 0
	v_add_nc_u32_e32 v69, 0x3000, v67
	v_add_nc_u32_e32 v83, 0x3800, v67
	ds_write2_b64 v68, v[24:25], v[10:11] offset0:120 offset1:176
	ds_write_b64 v62, v[2:3] offset:12096
	ds_write2_b64 v69, v[64:65], v[22:23] offset0:32 offset1:88
	ds_write2_b64 v69, v[28:29], v[38:39] offset0:144 offset1:200
	ds_write2_b64 v83, v[30:31], v[26:27] offset1:56
	ds_write_b64 v67, v[14:15] offset:15232
	s_waitcnt lgkmcnt(0)
	s_barrier
	buffer_gl0_inv
	ds_read2st64_b64 v[0:3], v233 offset1:7
	ds_read2_b64 v[4:7], v88 offset0:88 offset1:144
	ds_read2_b64 v[8:11], v78 offset0:152 offset1:208
	;; [unrolled: 1-line block ×9, first 2 shown]
	ds_read_b64 v[114:115], v234
	ds_read_b64 v[96:97], v245
	;; [unrolled: 1-line block ×4, first 2 shown]
	ds_read2_b64 v[44:47], v76 offset0:104 offset1:160
	ds_read2_b64 v[40:43], v79 offset0:120 offset1:176
	;; [unrolled: 1-line block ×4, first 2 shown]
	ds_read_b64 v[118:119], v205
	s_clause 0x1
	buffer_load_dword v206, off, s[36:39], 0 offset:88
	buffer_load_dword v126, off, s[36:39], 0 offset:96
	s_waitcnt vmcnt(1)
	ds_read_b64 v[116:117], v206
	s_waitcnt vmcnt(0)
	ds_read_b64 v[120:121], v126
	s_waitcnt lgkmcnt(0)
	s_barrier
	buffer_gl0_inv
	ds_write2_b64 v233, v[70:71], v[101:102] offset1:56
	ds_write2_b64 v233, v[150:151], v[158:159] offset0:112 offset1:168
	ds_write2_b64 v89, v[94:95], v[74:75] offset0:96 offset1:152
	;; [unrolled: 1-line block ×3, first 2 shown]
	ds_write_b64 v82, v[122:123]
	ds_write2_b64 v98, v[130:131], v[134:135] offset0:120 offset1:176
	ds_write2_b64 v76, v[136:137], v[138:139] offset0:104 offset1:160
	ds_write_b64 v233, v[128:129] offset:5824
	ds_write2_b64 v59, v[162:163], v[140:141] offset0:16 offset1:72
	ds_write2_b64 v59, v[146:147], v[148:149] offset0:128 offset1:184
	ds_write2_b64 v63, v[56:57], v[72:73] offset0:112 offset1:168
	ds_write_b64 v58, v[111:112] offset:8960
	ds_write2_b64 v66, v[182:183], v[156:157] offset0:152 offset1:208
	;; [unrolled: 4-line block ×3, first 2 shown]
	ds_write2_b64 v69, v[172:173], v[174:175] offset0:144 offset1:200
	ds_write2_b64 v83, v[180:181], v[103:104] offset1:56
	ds_write_b64 v67, v[124:125] offset:15232
	s_waitcnt lgkmcnt(0)
	s_barrier
	buffer_gl0_inv
	s_mov_b32 s0, exec_lo
	buffer_load_dword v70, off, s[36:39], 0 offset:52 ; 4-byte Folded Reload
	s_and_b32 s0, s0, vcc_lo
	s_mov_b32 exec_lo, s0
	s_cbranch_execz .LBB0_29
; %bb.28:
	buffer_load_dword v56, off, s[36:39], 0 offset:84 ; 4-byte Folded Reload
	v_mov_b32_e32 v123, 0
	v_lshlrev_b32_e32 v64, 2, v253
	s_waitcnt vmcnt(1)
	v_lshlrev_b32_e32 v84, 2, v70
	v_lshlrev_b32_e32 v93, 2, v240
	;; [unrolled: 1-line block ×3, first 2 shown]
	v_mov_b32_e32 v57, v123
	v_mov_b32_e32 v65, v123
	;; [unrolled: 1-line block ×4, first 2 shown]
	v_mul_lo_u32 v247, s5, v178
	v_mul_lo_u32 v248, s4, v179
	v_lshlrev_b64 v[70:71], 4, v[64:65]
	v_lshlrev_b64 v[93:94], 4, v[93:94]
	;; [unrolled: 1-line block ×3, first 2 shown]
	v_mad_u64_u32 v[124:125], null, s4, v178, 0
	v_add_nc_u32_e32 v227, 0x2000, v233
	v_add_nc_u32_e32 v204, 0x1000, v233
	;; [unrolled: 1-line block ×5, first 2 shown]
	s_mov_b32 s14, 0x134454ff
	v_add3_u32 v125, v125, v248, v247
	s_mov_b32 s15, 0xbfee6f0e
	s_mov_b32 s7, 0x3fee6f0e
	;; [unrolled: 1-line block ×9, first 2 shown]
	v_lshlrev_b64 v[124:125], 4, v[124:125]
	s_waitcnt vmcnt(0)
	v_lshlrev_b32_e32 v122, 2, v56
	buffer_load_dword v56, off, s[36:39], 0 offset:8 ; 4-byte Folded Reload
	v_lshlrev_b64 v[58:59], 4, v[122:123]
	v_lshlrev_b32_e32 v122, 2, v226
	v_add_co_u32 v66, vcc_lo, s12, v58
	v_add_co_ci_u32_e32 v67, vcc_lo, s13, v59, vcc_lo
	s_waitcnt vmcnt(0)
	v_lshlrev_b32_e32 v56, 2, v56
	v_lshlrev_b64 v[56:57], 4, v[56:57]
	v_add_co_u32 v72, vcc_lo, s12, v56
	v_add_co_ci_u32_e32 v73, vcc_lo, s13, v57, vcc_lo
	v_add_co_u32 v68, vcc_lo, 0x1840, v66
	v_add_co_ci_u32_e32 v69, vcc_lo, 0, v67, vcc_lo
	;; [unrolled: 2-line block ×3, first 2 shown]
	s_clause 0x1
	global_load_dwordx4 v[56:59], v[68:69], off offset:48
	global_load_dwordx4 v[60:63], v[82:83], off offset:48
	v_add_co_u32 v64, vcc_lo, 0x1800, v66
	v_add_co_ci_u32_e32 v65, vcc_lo, 0, v67, vcc_lo
	v_add_co_u32 v90, vcc_lo, 0x1800, v72
	v_add_co_ci_u32_e32 v91, vcc_lo, 0, v73, vcc_lo
	v_add_co_u32 v95, vcc_lo, s12, v70
	s_clause 0x2
	global_load_dwordx4 v[76:79], v[64:65], off offset:64
	global_load_dwordx4 v[64:67], v[68:69], off offset:32
	global_load_dwordx4 v[72:75], v[68:69], off offset:16
	v_add_co_ci_u32_e32 v102, vcc_lo, s13, v71, vcc_lo
	s_clause 0x2
	global_load_dwordx4 v[68:71], v[90:91], off offset:64
	global_load_dwordx4 v[128:131], v[82:83], off offset:16
	;; [unrolled: 1-line block ×3, first 2 shown]
	v_add_co_u32 v100, vcc_lo, 0x1800, v95
	v_add_co_ci_u32_e32 v101, vcc_lo, 0, v102, vcc_lo
	global_load_dwordx4 v[132:135], v[100:101], off offset:64
	v_add_co_u32 v100, vcc_lo, 0x1840, v95
	v_add_co_ci_u32_e32 v101, vcc_lo, 0, v102, vcc_lo
	s_clause 0x1
	global_load_dwordx4 v[140:143], v[100:101], off offset:32
	global_load_dwordx4 v[144:147], v[100:101], off offset:16
	v_mov_b32_e32 v90, v123
	v_add_co_u32 v91, vcc_lo, s12, v93
	v_add_co_ci_u32_e32 v93, vcc_lo, s13, v94, vcc_lo
	v_lshlrev_b64 v[89:90], 4, v[89:90]
	v_lshlrev_b64 v[122:123], 4, v[122:123]
	v_add_co_u32 v95, vcc_lo, s12, v89
	v_add_co_ci_u32_e32 v102, vcc_lo, s13, v90, vcc_lo
	v_add_co_u32 v82, vcc_lo, 0x1840, v91
	v_add_co_ci_u32_e32 v83, vcc_lo, 0, v93, vcc_lo
	v_add_co_u32 v89, vcc_lo, 0x1800, v91
	v_add_co_ci_u32_e32 v90, vcc_lo, 0, v93, vcc_lo
	s_clause 0x4
	global_load_dwordx4 v[148:151], v[100:101], off offset:48
	global_load_dwordx4 v[152:155], v[82:83], off offset:32
	;; [unrolled: 1-line block ×5, first 2 shown]
	v_add_co_u32 v93, vcc_lo, 0x1840, v95
	v_add_co_ci_u32_e32 v94, vcc_lo, 0, v102, vcc_lo
	v_add_co_u32 v82, vcc_lo, 0x1800, v95
	v_add_co_ci_u32_e32 v83, vcc_lo, 0, v102, vcc_lo
	s_clause 0x2
	global_load_dwordx4 v[168:171], v[93:94], off offset:32
	global_load_dwordx4 v[172:175], v[93:94], off offset:16
	;; [unrolled: 1-line block ×3, first 2 shown]
	v_add_co_u32 v84, vcc_lo, s12, v84
	global_load_dwordx4 v[180:183], v[82:83], off offset:64
	v_add_co_ci_u32_e32 v85, vcc_lo, s13, v85, vcc_lo
	v_add_co_u32 v89, vcc_lo, 0x1840, v84
	v_add_nc_u32_e32 v100, 0x3800, v233
	v_add_co_ci_u32_e32 v90, vcc_lo, 0, v85, vcc_lo
	v_add_co_u32 v82, vcc_lo, 0x1800, v84
	v_add_co_ci_u32_e32 v83, vcc_lo, 0, v85, vcc_lo
	s_clause 0x3
	global_load_dwordx4 v[106:109], v[89:90], off offset:16
	global_load_dwordx4 v[82:85], v[82:83], off offset:64
	;; [unrolled: 1-line block ×4, first 2 shown]
	ds_read2_b64 v[88:91], v88 offset0:88 offset1:144
	ds_read2_b64 v[92:95], v92 offset0:104 offset1:160
	ds_read_b64 v[178:179], v126
	ds_read2_b64 v[188:191], v100 offset0:56 offset1:112
	ds_read2_b64 v[192:195], v99 offset0:72 offset1:128
	;; [unrolled: 1-line block ×3, first 2 shown]
	ds_read2st64_b64 v[98:101], v233 offset1:7
	ds_read_b64 v[224:225], v203
	ds_read_b64 v[231:232], v202
	;; [unrolled: 1-line block ×6, first 2 shown]
	ds_read2_b64 v[200:203], v227 offset0:40 offset1:96
	v_add_co_u32 v249, vcc_lo, s12, v122
	v_add_co_ci_u32_e32 v250, vcc_lo, s13, v123, vcc_lo
	s_waitcnt vmcnt(23) lgkmcnt(10)
	v_mul_f64 v[239:240], v[56:57], v[190:191]
	v_mul_f64 v[241:242], v[58:59], v[190:191]
	s_waitcnt vmcnt(22)
	v_mul_f64 v[243:244], v[60:61], v[188:189]
	v_mul_f64 v[245:246], v[62:63], v[188:189]
	ds_read2_b64 v[188:191], v204 offset0:104 offset1:160
	ds_read2_b64 v[204:207], v212 offset0:120 offset1:176
	;; [unrolled: 1-line block ×7, first 2 shown]
	s_waitcnt vmcnt(21)
	v_mul_f64 v[122:123], v[76:77], v[88:89]
	v_mul_f64 v[88:89], v[78:79], v[88:89]
	v_fma_f64 v[58:59], v[54:55], v[58:59], v[239:240]
	v_fma_f64 v[54:55], v[54:55], v[56:57], -v[241:242]
	s_waitcnt vmcnt(19) lgkmcnt(7)
	v_mul_f64 v[56:57], v[72:73], v[202:203]
	v_mul_f64 v[202:203], v[74:75], v[202:203]
	v_fma_f64 v[62:63], v[52:53], v[62:63], v[243:244]
	v_fma_f64 v[52:53], v[52:53], v[60:61], -v[245:246]
	s_waitcnt vmcnt(18) lgkmcnt(6)
	v_mul_f64 v[60:61], v[68:69], v[190:191]
	v_mul_f64 v[190:191], v[70:71], v[190:191]
	s_waitcnt vmcnt(17)
	v_mul_f64 v[241:242], v[128:129], v[200:201]
	v_mul_f64 v[243:244], v[130:131], v[200:201]
	v_add_co_u32 v239, vcc_lo, 0x1840, v249
	v_add_co_ci_u32_e32 v240, vcc_lo, 0, v250, vcc_lo
	s_waitcnt vmcnt(15)
	v_mul_f64 v[245:246], v[132:133], v[188:189]
	v_mul_f64 v[247:248], v[134:135], v[188:189]
	v_add_co_u32 v188, vcc_lo, 0x1800, v249
	v_add_co_ci_u32_e32 v189, vcc_lo, 0, v250, vcc_lo
	v_mul_f64 v[249:250], v[64:65], v[92:93]
	v_fma_f64 v[78:79], v[4:5], v[78:79], v[122:123]
	v_fma_f64 v[4:5], v[4:5], v[76:77], -v[88:89]
	v_mul_f64 v[76:77], v[66:67], v[92:93]
	s_waitcnt lgkmcnt(5)
	v_mul_f64 v[88:89], v[136:137], v[206:207]
	v_fma_f64 v[56:57], v[50:51], v[74:75], v[56:57]
	v_fma_f64 v[50:51], v[50:51], v[72:73], -v[202:203]
	v_mul_f64 v[72:73], v[138:139], v[206:207]
	s_waitcnt vmcnt(14)
	v_mul_f64 v[74:75], v[140:141], v[204:205]
	v_mul_f64 v[92:93], v[142:143], v[204:205]
	v_fma_f64 v[60:61], v[46:47], v[70:71], v[60:61]
	v_fma_f64 v[46:47], v[46:47], v[68:69], -v[190:191]
	s_clause 0x1
	global_load_dwordx4 v[188:191], v[188:189], off offset:64
	global_load_dwordx4 v[200:203], v[239:240], off offset:48
	v_fma_f64 v[68:69], v[48:49], v[130:131], v[241:242]
	v_fma_f64 v[48:49], v[48:49], v[128:129], -v[243:244]
	s_clause 0x1
	global_load_dwordx4 v[128:131], v[239:240], off offset:32
	global_load_dwordx4 v[204:207], v[239:240], off offset:16
	s_waitcnt vmcnt(17) lgkmcnt(4)
	v_mul_f64 v[70:71], v[144:145], v[210:211]
	v_fma_f64 v[122:123], v[44:45], v[134:135], v[245:246]
	v_fma_f64 v[132:133], v[44:45], v[132:133], -v[247:248]
	s_waitcnt vmcnt(16)
	v_mul_f64 v[44:45], v[148:149], v[194:195]
	v_mul_f64 v[134:135], v[150:151], v[194:195]
	v_mul_f64 v[194:195], v[146:147], v[210:211]
	s_waitcnt vmcnt(14)
	v_mul_f64 v[210:211], v[156:157], v[208:209]
	v_fma_f64 v[66:67], v[12:13], v[66:67], v[249:250]
	s_waitcnt lgkmcnt(3)
	v_mul_f64 v[239:240], v[152:153], v[214:215]
	v_fma_f64 v[12:13], v[12:13], v[64:65], -v[76:77]
	s_waitcnt vmcnt(13)
	v_mul_f64 v[64:65], v[160:161], v[198:199]
	s_waitcnt vmcnt(12)
	v_mul_f64 v[76:77], v[164:165], v[192:193]
	v_mul_f64 v[192:193], v[166:167], v[192:193]
	;; [unrolled: 1-line block ×3, first 2 shown]
	v_fma_f64 v[88:89], v[42:43], v[138:139], v[88:89]
	v_fma_f64 v[74:75], v[40:41], v[142:143], v[74:75]
	v_fma_f64 v[40:41], v[40:41], v[140:141], -v[92:93]
	v_add_f64 v[92:93], v[78:79], v[178:179]
	v_add_f64 v[138:139], v[120:121], v[4:5]
	v_mul_f64 v[208:209], v[158:159], v[208:209]
	v_fma_f64 v[42:43], v[42:43], v[136:137], -v[72:73]
	v_mul_f64 v[72:73], v[154:155], v[214:215]
	s_waitcnt vmcnt(10) lgkmcnt(2)
	v_mul_f64 v[136:137], v[172:173], v[218:219]
	s_waitcnt vmcnt(8)
	v_mul_f64 v[140:141], v[180:181], v[196:197]
	v_mul_f64 v[142:143], v[168:169], v[212:213]
	;; [unrolled: 1-line block ×3, first 2 shown]
	s_waitcnt lgkmcnt(1)
	v_mul_f64 v[214:215], v[184:185], v[222:223]
	v_fma_f64 v[150:151], v[38:39], v[150:151], v[44:45]
	v_fma_f64 v[38:39], v[38:39], v[148:149], -v[134:135]
	v_mul_f64 v[44:45], v[186:187], v[222:223]
	v_mul_f64 v[134:135], v[174:175], v[218:219]
	;; [unrolled: 1-line block ×3, first 2 shown]
	v_fma_f64 v[70:71], v[34:35], v[146:147], v[70:71]
	v_fma_f64 v[146:147], v[32:33], v[158:159], v[210:211]
	;; [unrolled: 1-line block ×4, first 2 shown]
	v_fma_f64 v[30:31], v[30:31], v[160:161], -v[198:199]
	v_fma_f64 v[160:161], v[36:37], v[164:165], -v[192:193]
	v_fma_f64 v[154:155], v[26:27], v[154:155], v[239:240]
	v_add_f64 v[36:37], v[56:57], v[92:93]
	v_add_f64 v[76:77], v[50:51], v[138:139]
	v_fma_f64 v[32:33], v[32:33], v[156:157], -v[208:209]
	v_add_f64 v[162:163], v[78:79], -v[56:57]
	v_fma_f64 v[92:93], v[26:27], v[152:153], -v[72:73]
	v_fma_f64 v[136:137], v[18:19], v[174:175], v[136:137]
	v_fma_f64 v[138:139], v[28:29], v[182:183], v[140:141]
	v_fma_f64 v[140:141], v[24:25], v[170:171], v[142:143]
	v_fma_f64 v[152:153], v[28:29], v[180:181], -v[196:197]
	v_fma_f64 v[142:143], v[22:23], v[186:187], v[214:215]
	v_add_f64 v[26:27], v[66:67], -v[58:59]
	v_add_f64 v[28:29], v[4:5], -v[54:55]
	v_fma_f64 v[156:157], v[22:23], v[184:185], -v[44:45]
	v_fma_f64 v[134:135], v[18:19], v[172:173], -v[134:135]
	;; [unrolled: 1-line block ×3, first 2 shown]
	v_add_f64 v[18:19], v[56:57], -v[78:79]
	v_add_f64 v[44:45], v[78:79], v[58:59]
	v_add_f64 v[164:165], v[58:59], -v[66:67]
	v_add_f64 v[166:167], v[56:57], v[66:67]
	;; [unrolled: 2-line block ×4, first 2 shown]
	v_add_f64 v[36:37], v[76:77], v[12:13]
	v_add_f64 v[76:77], v[54:55], -v[12:13]
	v_add_f64 v[192:193], v[60:61], v[235:236]
	v_add_f64 v[196:197], v[118:119], v[46:47]
	v_fma_f64 v[34:35], v[34:35], v[144:145], -v[194:195]
	v_add_f64 v[72:73], v[50:51], -v[12:13]
	v_add_f64 v[170:171], v[12:13], -v[54:55]
	;; [unrolled: 1-line block ×4, first 2 shown]
	v_add_f64 v[12:13], v[50:51], v[12:13]
	v_add_f64 v[180:181], v[48:49], -v[42:43]
	v_add_f64 v[182:183], v[60:61], -v[68:69]
	;; [unrolled: 1-line block ×4, first 2 shown]
	v_add_f64 v[208:209], v[46:47], v[52:53]
	v_add_f64 v[210:211], v[46:47], -v[48:49]
	v_add_f64 v[214:215], v[52:53], -v[42:43]
	v_add_f64 v[218:219], v[48:49], v[42:43]
	v_add_f64 v[18:19], v[18:19], v[26:27]
	v_add_f64 v[26:27], v[122:123], v[150:151]
	v_fma_f64 v[44:45], v[44:45], -0.5, v[178:179]
	v_add_f64 v[24:25], v[58:59], v[22:23]
	v_add_f64 v[22:23], v[36:37], v[54:55]
	v_add_f64 v[36:37], v[70:71], -v[122:123]
	v_add_f64 v[54:55], v[74:75], -v[150:151]
	v_add_f64 v[58:59], v[162:163], v[164:165]
	v_add_f64 v[162:163], v[122:123], -v[70:71]
	v_fma_f64 v[164:165], v[166:167], -0.5, v[178:179]
	v_add_f64 v[166:167], v[150:151], -v[74:75]
	v_add_f64 v[4:5], v[4:5], v[76:77]
	v_add_f64 v[76:77], v[122:123], v[224:225]
	;; [unrolled: 1-line block ×4, first 2 shown]
	v_add_f64 v[50:51], v[68:69], -v[60:61]
	v_add_f64 v[78:79], v[88:89], -v[62:63]
	v_add_f64 v[174:175], v[60:61], v[62:63]
	v_add_f64 v[186:187], v[68:69], v[88:89]
	v_add_f64 v[198:199], v[42:43], -v[52:53]
	v_add_f64 v[168:169], v[168:169], v[170:171]
	v_add_f64 v[170:171], v[70:71], v[74:75]
	v_add_f64 v[192:193], v[34:35], -v[132:133]
	v_fma_f64 v[172:173], v[172:173], -0.5, v[120:121]
	v_fma_f64 v[12:13], v[12:13], -0.5, v[120:121]
	v_add_f64 v[120:121], v[40:41], -v[38:39]
	v_add_f64 v[182:183], v[182:183], v[184:185]
	v_add_f64 v[184:185], v[132:133], -v[34:35]
	v_add_f64 v[196:197], v[38:39], -v[40:41]
	v_add_f64 v[210:211], v[210:211], v[214:215]
	v_add_f64 v[214:215], v[86:87], v[132:133]
	v_fma_f64 v[208:209], v[208:209], -0.5, v[118:119]
	v_fma_f64 v[118:119], v[218:219], -0.5, v[118:119]
	v_add_f64 v[218:219], v[146:147], -v[64:65]
	v_add_f64 v[222:223], v[36:37], v[54:55]
	v_add_f64 v[36:37], v[154:155], -v[158:159]
	v_add_f64 v[54:55], v[68:69], -v[88:89]
	v_add_f64 v[68:69], v[88:89], v[178:179]
	v_add_f64 v[42:43], v[48:49], v[42:43]
	v_add_f64 v[48:49], v[64:65], -v[146:147]
	v_add_f64 v[162:163], v[162:163], v[166:167]
	v_add_f64 v[166:167], v[158:159], -v[154:155]
	v_fma_f64 v[178:179], v[26:27], -0.5, v[224:225]
	v_add_f64 v[26:27], v[146:147], v[154:155]
	v_add_f64 v[76:77], v[70:71], v[76:77]
	;; [unrolled: 1-line block ×4, first 2 shown]
	v_fma_f64 v[174:175], v[174:175], -0.5, v[235:236]
	v_fma_f64 v[186:187], v[186:187], -0.5, v[235:236]
	v_add_f64 v[194:195], v[194:195], v[198:199]
	v_add_f64 v[198:199], v[34:35], v[40:41]
	;; [unrolled: 1-line block ×3, first 2 shown]
	v_fma_f64 v[170:171], v[170:171], -0.5, v[224:225]
	v_add_f64 v[120:121], v[192:193], v[120:121]
	v_add_f64 v[192:193], v[32:33], -v[30:31]
	v_add_f64 v[184:185], v[184:185], v[196:197]
	v_add_f64 v[196:197], v[92:93], -v[160:161]
	v_add_f64 v[46:47], v[46:47], -v[52:53]
	;; [unrolled: 1-line block ×3, first 2 shown]
	v_add_f64 v[214:215], v[34:35], v[214:215]
	v_add_f64 v[218:219], v[218:219], v[36:37]
	v_fma_f64 v[36:37], v[72:73], s[14:15], v[44:45]
	v_fma_f64 v[224:225], v[72:73], s[6:7], v[44:45]
	v_add_f64 v[235:236], v[34:35], -v[40:41]
	v_add_f64 v[44:45], v[62:63], v[68:69]
	v_add_f64 v[42:43], v[42:43], v[52:53]
	v_fma_f64 v[34:35], v[28:29], s[6:7], v[164:165]
	v_fma_f64 v[52:53], v[56:57], s[6:7], v[172:173]
	;; [unrolled: 1-line block ×3, first 2 shown]
	v_add_f64 v[68:69], v[70:71], -v[74:75]
	v_fma_f64 v[70:71], v[56:57], s[14:15], v[172:173]
	v_add_f64 v[164:165], v[48:49], v[166:167]
	v_add_f64 v[48:49], v[64:65], v[231:232]
	v_fma_f64 v[166:167], v[26:27], -0.5, v[231:232]
	v_fma_f64 v[26:27], v[66:67], s[14:15], v[12:13]
	v_fma_f64 v[12:13], v[66:67], s[6:7], v[12:13]
	v_add_f64 v[74:75], v[74:75], v[76:77]
	v_fma_f64 v[78:79], v[78:79], -0.5, v[86:87]
	v_fma_f64 v[86:87], v[198:199], -0.5, v[86:87]
	;; [unrolled: 1-line block ×3, first 2 shown]
	v_add_f64 v[172:173], v[192:193], v[196:197]
	v_add_f64 v[192:193], v[30:31], v[160:161]
	;; [unrolled: 1-line block ×5, first 2 shown]
	v_fma_f64 v[36:37], v[28:29], s[4:5], v[36:37]
	v_fma_f64 v[214:215], v[28:29], s[8:9], v[224:225]
	v_add_f64 v[132:133], v[132:133], -v[38:39]
	v_add_f64 v[122:123], v[122:123], -v[150:151]
	v_fma_f64 v[231:232], v[72:73], s[4:5], v[34:35]
	v_fma_f64 v[34:35], v[66:67], s[8:9], v[52:53]
	;; [unrolled: 1-line block ×4, first 2 shown]
	v_add_f64 v[70:71], v[32:33], -v[92:93]
	v_add_f64 v[48:49], v[146:147], v[48:49]
	v_add_f64 v[239:240], v[64:65], -v[158:159]
	v_fma_f64 v[241:242], v[56:57], s[8:9], v[26:27]
	v_fma_f64 v[12:13], v[56:57], s[4:5], v[12:13]
	v_add_f64 v[64:65], v[150:151], v[74:75]
	v_fma_f64 v[74:75], v[180:181], s[14:15], v[174:175]
	v_fma_f64 v[150:151], v[180:181], s[6:7], v[174:175]
	v_add_f64 v[72:73], v[30:31], -v[160:161]
	v_add_f64 v[146:147], v[146:147], -v[154:155]
	;; [unrolled: 1-line block ×3, first 2 shown]
	v_fma_f64 v[56:57], v[192:193], -0.5, v[80:81]
	v_fma_f64 v[76:77], v[76:77], -0.5, v[80:81]
	v_add_f64 v[80:81], v[138:139], v[142:143]
	v_add_f64 v[192:193], v[32:33], v[196:197]
	;; [unrolled: 1-line block ×4, first 2 shown]
	v_fma_f64 v[28:29], v[18:19], s[0:1], v[36:37]
	v_fma_f64 v[174:175], v[46:47], s[6:7], v[186:187]
	;; [unrolled: 1-line block ×18, first 2 shown]
	v_add_f64 v[154:155], v[154:155], v[48:49]
	v_fma_f64 v[48:49], v[68:69], s[6:7], v[78:79]
	v_fma_f64 v[78:79], v[68:69], s[14:15], v[78:79]
	;; [unrolled: 1-line block ×8, first 2 shown]
	s_waitcnt vmcnt(7)
	v_mul_f64 v[212:213], v[106:107], v[216:217]
	s_waitcnt vmcnt(6)
	v_mul_f64 v[144:145], v[82:83], v[100:101]
	s_waitcnt vmcnt(5) lgkmcnt(0)
	v_mul_f64 v[198:199], v[110:111], v[229:230]
	s_waitcnt vmcnt(4)
	v_mul_f64 v[224:225], v[102:103], v[220:221]
	v_add_f64 v[245:246], v[160:161], -v[92:93]
	v_fma_f64 v[170:171], v[180:181], s[4:5], v[174:175]
	v_fma_f64 v[174:175], v[180:181], s[8:9], v[186:187]
	v_fma_f64 v[18:19], v[60:61], s[8:9], v[18:19]
	v_fma_f64 v[66:67], v[60:61], s[4:5], v[66:67]
	v_fma_f64 v[60:61], v[72:73], s[6:7], v[166:167]
	v_fma_f64 v[166:167], v[72:73], s[14:15], v[166:167]
	v_fma_f64 v[168:169], v[54:55], s[8:9], v[168:169]
	v_fma_f64 v[118:119], v[54:55], s[4:5], v[118:119]
	v_fma_f64 v[54:55], v[146:147], s[6:7], v[56:57]
	v_fma_f64 v[4:5], v[132:133], s[4:5], v[4:5]
	v_fma_f64 v[180:181], v[235:236], s[4:5], v[52:53]
	v_fma_f64 v[186:187], v[235:236], s[8:9], v[58:59]
	v_add_f64 v[208:209], v[152:153], -v[156:157]
	v_fma_f64 v[214:215], v[122:123], s[8:9], v[48:49]
	v_fma_f64 v[78:79], v[122:123], s[4:5], v[78:79]
	v_add_f64 v[122:123], v[134:135], -v[148:149]
	v_fma_f64 v[150:151], v[68:69], s[8:9], v[150:151]
	v_fma_f64 v[86:87], v[68:69], s[4:5], v[86:87]
	v_fma_f64 v[235:236], v[80:81], -0.5, v[233:234]
	v_fma_f64 v[196:197], v[196:197], -0.5, v[233:234]
	v_fma_f64 v[178:179], v[72:73], s[4:5], v[178:179]
	v_fma_f64 v[88:89], v[72:73], s[8:9], v[88:89]
	;; [unrolled: 1-line block ×6, first 2 shown]
	v_add_f64 v[132:133], v[136:137], -v[138:139]
	v_add_f64 v[231:232], v[152:153], v[156:157]
	v_fma_f64 v[249:250], v[70:71], s[4:5], v[60:61]
	v_fma_f64 v[166:167], v[70:71], s[8:9], v[166:167]
	;; [unrolled: 1-line block ×20, first 2 shown]
	v_add_f64 v[86:87], v[140:141], -v[142:143]
	v_fma_f64 v[88:89], v[122:123], s[14:15], v[235:236]
	v_fma_f64 v[118:119], v[122:123], s[6:7], v[235:236]
	v_add_f64 v[120:121], v[138:139], -v[136:137]
	v_add_f64 v[150:151], v[142:143], -v[140:141]
	v_fma_f64 v[162:163], v[208:209], s[6:7], v[196:197]
	v_fma_f64 v[168:169], v[208:209], s[14:15], v[196:197]
	v_add_f64 v[170:171], v[138:139], v[233:234]
	v_fma_f64 v[144:145], v[2:3], v[84:85], v[144:145]
	v_fma_f64 v[174:175], v[20:21], v[104:105], v[224:225]
	v_mul_f64 v[178:179], v[108:109], v[216:217]
	v_mul_f64 v[180:181], v[112:113], v[229:230]
	v_fma_f64 v[108:109], v[16:17], v[108:109], v[212:213]
	v_mul_f64 v[84:85], v[84:85], v[100:101]
	v_mul_f64 v[100:101], v[104:105], v[220:221]
	v_fma_f64 v[112:113], v[10:11], v[112:113], v[198:199]
	v_add_f64 v[186:187], v[243:244], v[245:246]
	v_fma_f64 v[194:195], v[146:147], s[8:9], v[247:248]
	v_fma_f64 v[146:147], v[146:147], s[4:5], v[251:252]
	;; [unrolled: 1-line block ×3, first 2 shown]
	v_add_f64 v[196:197], v[134:135], v[148:149]
	v_fma_f64 v[182:183], v[231:232], -0.5, v[96:97]
	v_add_f64 v[184:185], v[136:137], -v[140:141]
	v_add_f64 v[92:93], v[192:193], v[92:93]
	v_add_f64 v[132:133], v[132:133], v[86:87]
	v_fma_f64 v[192:193], v[208:209], s[4:5], v[88:89]
	v_fma_f64 v[118:119], v[208:209], s[8:9], v[118:119]
	v_add_f64 v[120:121], v[120:121], v[150:151]
	v_fma_f64 v[150:151], v[122:123], s[4:5], v[162:163]
	v_fma_f64 v[122:123], v[122:123], s[8:9], v[168:169]
	v_add_f64 v[136:137], v[136:137], v[170:171]
	v_add_f64 v[162:163], v[144:145], v[174:175]
	v_fma_f64 v[168:169], v[16:17], v[106:107], -v[178:179]
	v_fma_f64 v[170:171], v[10:11], v[110:111], -v[180:181]
	v_add_f64 v[138:139], v[138:139], -v[142:143]
	v_fma_f64 v[198:199], v[2:3], v[82:83], -v[84:85]
	v_fma_f64 v[20:21], v[20:21], v[102:103], -v[100:101]
	v_add_f64 v[100:101], v[108:109], v[112:113]
	v_add_f64 v[110:111], v[134:135], -v[152:153]
	v_add_f64 v[178:179], v[148:149], -v[156:157]
	v_fma_f64 v[82:83], v[186:187], s[0:1], v[146:147]
	v_add_f64 v[146:147], v[96:97], v[152:153]
	v_fma_f64 v[16:17], v[172:173], s[0:1], v[104:105]
	v_fma_f64 v[104:105], v[196:197], -0.5, v[96:97]
	v_fma_f64 v[180:181], v[184:185], s[6:7], v[182:183]
	v_add_f64 v[88:89], v[158:159], v[154:155]
	v_add_f64 v[86:87], v[92:93], v[160:161]
	v_fma_f64 v[92:93], v[132:133], s[0:1], v[192:193]
	v_fma_f64 v[102:103], v[132:133], s[0:1], v[118:119]
	s_waitcnt vmcnt(3)
	v_mul_f64 v[132:133], v[188:189], v[237:238]
	v_fma_f64 v[96:97], v[120:121], s[0:1], v[150:151]
	v_fma_f64 v[106:107], v[120:121], s[0:1], v[122:123]
	v_add_f64 v[122:123], v[140:141], v[136:137]
	v_fma_f64 v[118:119], v[162:163], -0.5, v[126:127]
	s_waitcnt vmcnt(2)
	v_mul_f64 v[136:137], v[200:201], v[94:95]
	v_add_f64 v[120:121], v[168:169], -v[170:171]
	s_waitcnt vmcnt(0)
	v_mul_f64 v[154:155], v[204:205], v[90:91]
	v_fma_f64 v[160:161], v[184:185], s[14:15], v[182:183]
	v_add_f64 v[140:141], v[198:199], -v[20:21]
	v_fma_f64 v[100:101], v[100:101], -0.5, v[126:127]
	v_add_f64 v[152:153], v[152:153], -v[134:135]
	v_mul_f64 v[162:163], v[190:191], v[237:238]
	v_mul_f64 v[94:95], v[202:203], v[94:95]
	v_add_f64 v[134:135], v[134:135], v[146:147]
	v_mul_f64 v[90:91], v[206:207], v[90:91]
	v_mul_f64 v[146:147], v[130:131], v[227:228]
	;; [unrolled: 1-line block ×3, first 2 shown]
	v_fma_f64 v[76:77], v[222:223], s[0:1], v[12:13]
	v_fma_f64 v[12:13], v[164:165], s[0:1], v[249:250]
	;; [unrolled: 1-line block ×3, first 2 shown]
	v_add_f64 v[164:165], v[156:157], -v[148:149]
	v_fma_f64 v[166:167], v[138:139], s[14:15], v[104:105]
	v_fma_f64 v[104:105], v[138:139], s[6:7], v[104:105]
	;; [unrolled: 1-line block ×4, first 2 shown]
	v_add_f64 v[110:111], v[110:111], v[178:179]
	v_fma_f64 v[150:151], v[138:139], s[8:9], v[180:181]
	v_add_f64 v[172:173], v[108:109], -v[144:145]
	v_add_f64 v[178:179], v[112:113], -v[174:175]
	v_fma_f64 v[180:181], v[120:121], s[14:15], v[118:119]
	v_fma_f64 v[118:119], v[120:121], s[6:7], v[118:119]
	v_fma_f64 v[132:133], v[116:117], v[190:191], v[132:133]
	v_fma_f64 v[186:187], v[14:15], v[202:203], v[136:137]
	v_fma_f64 v[190:191], v[140:141], s[6:7], v[100:101]
	v_fma_f64 v[100:101], v[140:141], s[14:15], v[100:101]
	v_fma_f64 v[138:139], v[138:139], s[4:5], v[160:161]
	v_fma_f64 v[116:117], v[116:117], v[188:189], -v[162:163]
	v_fma_f64 v[14:15], v[14:15], v[200:201], -v[94:95]
	;; [unrolled: 1-line block ×4, first 2 shown]
	v_add_f64 v[182:183], v[144:145], -v[108:109]
	v_add_f64 v[136:137], v[174:175], -v[112:113]
	v_fma_f64 v[154:155], v[6:7], v[206:207], v[154:155]
	v_fma_f64 v[130:131], v[8:9], v[130:131], v[158:159]
	v_add_f64 v[126:127], v[144:145], v[126:127]
	v_add_f64 v[94:95], v[198:199], v[20:21]
	v_add_f64 v[152:153], v[152:153], v[164:165]
	v_fma_f64 v[158:159], v[184:185], s[8:9], v[166:167]
	v_fma_f64 v[104:105], v[184:185], s[4:5], v[104:105]
	v_add_f64 v[6:7], v[168:169], v[170:171]
	v_add_f64 v[8:9], v[142:143], v[122:123]
	;; [unrolled: 1-line block ×4, first 2 shown]
	v_fma_f64 v[134:135], v[140:141], s[4:5], v[180:181]
	v_fma_f64 v[118:119], v[140:141], s[8:9], v[118:119]
	v_add_f64 v[140:141], v[132:133], v[186:187]
	v_fma_f64 v[142:143], v[120:121], s[4:5], v[190:191]
	v_fma_f64 v[120:121], v[120:121], s[8:9], v[100:101]
	;; [unrolled: 1-line block ×3, first 2 shown]
	v_add_f64 v[164:165], v[116:117], v[14:15]
	v_fma_f64 v[90:91], v[110:111], s[0:1], v[150:151]
	v_add_f64 v[138:139], v[160:161], v[146:147]
	v_add_f64 v[150:151], v[168:169], -v[198:199]
	v_add_f64 v[136:137], v[182:183], v[136:137]
	v_add_f64 v[162:163], v[170:171], -v[20:21]
	v_add_f64 v[148:149], v[154:155], v[130:131]
	v_add_f64 v[126:127], v[108:109], v[126:127]
	v_fma_f64 v[166:167], v[94:95], -0.5, v[114:115]
	v_add_f64 v[108:109], v[108:109], -v[112:113]
	v_fma_f64 v[94:95], v[152:153], s[0:1], v[158:159]
	v_fma_f64 v[104:105], v[152:153], s[0:1], v[104:105]
	v_add_f64 v[144:145], v[144:145], -v[174:175]
	v_fma_f64 v[152:153], v[6:7], -0.5, v[114:115]
	v_add_f64 v[6:7], v[122:123], v[156:157]
	v_add_f64 v[156:157], v[114:115], v[198:199]
	v_fma_f64 v[110:111], v[128:129], s[0:1], v[134:135]
	v_fma_f64 v[114:115], v[128:129], s[0:1], v[118:119]
	v_fma_f64 v[128:129], v[140:141], -0.5, v[98:99]
	v_add_f64 v[158:159], v[198:199], -v[168:169]
	v_add_f64 v[134:135], v[160:161], -v[146:147]
	;; [unrolled: 1-line block ×3, first 2 shown]
	v_fma_f64 v[140:141], v[164:165], -0.5, v[0:1]
	v_add_f64 v[164:165], v[20:21], -v[170:171]
	v_fma_f64 v[138:139], v[138:139], -0.5, v[0:1]
	v_add_f64 v[0:1], v[0:1], v[116:117]
	v_fma_f64 v[118:119], v[136:137], s[0:1], v[142:143]
	v_fma_f64 v[122:123], v[136:137], s[0:1], v[120:121]
	v_add_f64 v[120:121], v[116:117], -v[14:15]
	v_fma_f64 v[136:137], v[148:149], -0.5, v[98:99]
	v_add_f64 v[98:99], v[132:133], v[98:99]
	v_add_f64 v[142:143], v[154:155], -v[130:131]
	v_add_f64 v[112:113], v[112:113], v[126:127]
	v_add_f64 v[126:127], v[150:151], v[162:163]
	v_fma_f64 v[148:149], v[108:109], s[6:7], v[166:167]
	v_fma_f64 v[150:151], v[108:109], s[14:15], v[166:167]
	;; [unrolled: 1-line block ×4, first 2 shown]
	v_add_f64 v[156:157], v[168:169], v[156:157]
	v_add_f64 v[162:163], v[132:133], -v[186:187]
	v_add_f64 v[168:169], v[154:155], -v[132:133]
	;; [unrolled: 1-line block ×5, first 2 shown]
	v_fma_f64 v[178:179], v[134:135], s[14:15], v[128:129]
	v_fma_f64 v[128:129], v[134:135], s[6:7], v[128:129]
	v_add_f64 v[190:191], v[14:15], -v[146:147]
	v_add_f64 v[0:1], v[160:161], v[0:1]
	v_fma_f64 v[182:183], v[120:121], s[6:7], v[136:137]
	v_add_f64 v[98:99], v[154:155], v[98:99]
	v_fma_f64 v[188:189], v[142:143], s[6:7], v[140:141]
	v_fma_f64 v[140:141], v[142:143], s[14:15], v[140:141]
	;; [unrolled: 1-line block ×3, first 2 shown]
	v_add_f64 v[154:155], v[160:161], -v[116:117]
	v_fma_f64 v[148:149], v[144:145], s[8:9], v[148:149]
	v_fma_f64 v[144:145], v[144:145], s[4:5], v[150:151]
	v_add_f64 v[150:151], v[158:159], v[164:165]
	v_fma_f64 v[158:159], v[108:109], s[8:9], v[166:167]
	v_fma_f64 v[152:153], v[108:109], s[4:5], v[152:153]
	v_mul_hi_u32 v108, 0x5397829d, v226
	v_add_f64 v[156:157], v[156:157], v[170:171]
	v_add_f64 v[116:117], v[116:117], -v[160:161]
	v_fma_f64 v[192:193], v[162:163], s[14:15], v[138:139]
	v_add_f64 v[160:161], v[168:169], v[172:173]
	v_add_f64 v[168:169], v[132:133], v[180:181]
	v_fma_f64 v[164:165], v[120:121], s[4:5], v[178:179]
	v_add_f64 v[0:1], v[0:1], v[146:147]
	v_lshrrev_b32_e32 v108, 7, v108
	v_fma_f64 v[166:167], v[120:121], s[8:9], v[128:129]
	v_add_f64 v[128:129], v[174:175], v[112:113]
	v_fma_f64 v[170:171], v[134:135], s[4:5], v[182:183]
	v_add_f64 v[98:99], v[130:131], v[98:99]
	v_mul_u32_u24_e32 v108, 0x188, v108
	v_fma_f64 v[130:131], v[162:163], s[8:9], v[188:189]
	v_fma_f64 v[172:173], v[162:163], s[4:5], v[140:141]
	;; [unrolled: 1-line block ×4, first 2 shown]
	v_sub_nc_u32_e32 v182, v226, v108
	v_add_f64 v[154:155], v[154:155], v[184:185]
	v_fma_f64 v[108:109], v[126:127], s[0:1], v[148:149]
	v_fma_f64 v[120:121], v[150:151], s[0:1], v[152:153]
	;; [unrolled: 1-line block ×3, first 2 shown]
	v_mad_u64_u32 v[180:181], null, s2, v182, 0
	v_add_nc_u32_e32 v152, 0x188, v182
	v_add_f64 v[126:127], v[156:157], v[20:21]
	v_add_f64 v[174:175], v[116:117], v[190:191]
	v_fma_f64 v[116:117], v[150:151], s[0:1], v[158:159]
	v_add_f64 v[146:147], v[0:1], v[14:15]
	v_mad_u64_u32 v[150:151], null, s2, v152, 0
	v_mov_b32_e32 v20, v181
	v_lshlrev_b64 v[0:1], 4, v[176:177]
	v_fma_f64 v[178:179], v[142:143], s[8:9], v[192:193]
	v_add_f64 v[148:149], v[186:187], v[98:99]
	v_add_co_u32 v15, vcc_lo, s10, v124
	v_mad_u64_u32 v[20:21], null, s3, v182, v[20:21]
	v_fma_f64 v[98:99], v[142:143], s[4:5], v[162:163]
	v_mov_b32_e32 v14, v151
	v_add_nc_u32_e32 v142, 0x310, v182
	v_add_nc_u32_e32 v143, 0x498, v182
	v_fma_f64 v[144:145], v[168:169], s[0:1], v[134:135]
	v_fma_f64 v[130:131], v[154:155], s[0:1], v[130:131]
	;; [unrolled: 1-line block ×3, first 2 shown]
	v_add_nc_u32_e32 v155, 56, v226
	v_mov_b32_e32 v181, v20
	v_add_co_ci_u32_e32 v20, vcc_lo, s11, v125, vcc_lo
	v_add_co_u32 v0, vcc_lo, v15, v0
	v_mad_u64_u32 v[14:15], null, s3, v152, v[14:15]
	v_mad_u64_u32 v[124:125], null, s2, v142, 0
	;; [unrolled: 1-line block ×3, first 2 shown]
	v_mul_hi_u32 v154, 0x5397829d, v155
	v_add_co_ci_u32_e32 v1, vcc_lo, v20, v1, vcc_lo
	v_mov_b32_e32 v151, v14
	v_mov_b32_e32 v15, v125
	v_lshlrev_b64 v[20:21], 4, v[180:181]
	v_mov_b32_e32 v14, v153
	v_fma_f64 v[136:137], v[160:161], s[0:1], v[166:167]
	v_lshrrev_b32_e32 v156, 7, v154
	v_mad_u64_u32 v[153:154], null, s3, v142, v[15:16]
	v_mad_u64_u32 v[14:15], null, s3, v143, v[14:15]
	v_mul_u32_u24_e32 v15, 0x188, v156
	v_add_co_u32 v20, vcc_lo, v0, v20
	v_add_co_ci_u32_e32 v21, vcc_lo, v1, v21, vcc_lo
	v_fma_f64 v[142:143], v[174:175], s[0:1], v[98:99]
	v_sub_nc_u32_e32 v98, v155, v15
	v_fma_f64 v[132:133], v[160:161], s[0:1], v[164:165]
	global_store_dwordx4 v[20:21], v[146:149], off
	v_lshlrev_b64 v[20:21], 4, v[150:151]
	v_add_nc_u32_e32 v148, 0x620, v182
	v_mov_b32_e32 v125, v153
	v_mad_u32_u24 v151, 0x7a8, v156, v98
	v_mov_b32_e32 v153, v14
	v_fma_f64 v[140:141], v[168:169], s[0:1], v[170:171]
	v_mad_u64_u32 v[14:15], null, s2, v148, 0
	v_lshlrev_b64 v[98:99], 4, v[124:125]
	v_mad_u64_u32 v[146:147], null, s2, v151, 0
	v_add_co_u32 v20, vcc_lo, v0, v20
	v_lshlrev_b64 v[124:125], 4, v[152:153]
	v_add_co_ci_u32_e32 v21, vcc_lo, v1, v21, vcc_lo
	v_add_co_u32 v98, vcc_lo, v0, v98
	v_add_co_ci_u32_e32 v99, vcc_lo, v1, v99, vcc_lo
	v_mad_u64_u32 v[148:149], null, s3, v148, v[15:16]
	v_mov_b32_e32 v15, v147
	v_add_co_u32 v124, vcc_lo, v0, v124
	v_add_co_ci_u32_e32 v125, vcc_lo, v1, v125, vcc_lo
	v_mad_u64_u32 v[149:150], null, s3, v151, v[15:16]
	global_store_dwordx4 v[20:21], v[142:145], off
	global_store_dwordx4 v[98:99], v[134:137], off
	;; [unrolled: 1-line block ×3, first 2 shown]
	v_add_nc_u32_e32 v130, 0x188, v151
	v_add_nc_u32_e32 v134, 0x70, v226
	v_fma_f64 v[138:139], v[174:175], s[0:1], v[178:179]
	v_mov_b32_e32 v15, v148
	v_add_nc_u32_e32 v132, 0x310, v151
	v_mad_u64_u32 v[20:21], null, s2, v130, 0
	v_mov_b32_e32 v147, v149
	v_mul_hi_u32 v133, 0x5397829d, v134
	v_lshlrev_b64 v[14:15], 4, v[14:15]
	v_mad_u64_u32 v[98:99], null, s2, v132, 0
	v_lshlrev_b64 v[124:125], 4, v[146:147]
	v_mad_u64_u32 v[130:131], null, s3, v130, v[21:22]
	v_add_nc_u32_e32 v135, 0x498, v151
	v_add_co_u32 v14, vcc_lo, v0, v14
	v_lshrrev_b32_e32 v136, 7, v133
	v_add_co_ci_u32_e32 v15, vcc_lo, v1, v15, vcc_lo
	v_mad_u64_u32 v[131:132], null, s3, v132, v[99:100]
	v_add_co_u32 v124, vcc_lo, v0, v124
	v_mad_u64_u32 v[132:133], null, s2, v135, 0
	v_add_co_ci_u32_e32 v125, vcc_lo, v1, v125, vcc_lo
	v_mul_u32_u24_e32 v137, 0x188, v136
	v_mov_b32_e32 v21, v130
	global_store_dwordx4 v[14:15], v[138:141], off
	global_store_dwordx4 v[124:125], v[126:129], off
	v_add_nc_u32_e32 v129, 0x620, v151
	v_sub_nc_u32_e32 v124, v134, v137
	v_lshlrev_b64 v[14:15], 4, v[20:21]
	v_mov_b32_e32 v20, v133
	v_mov_b32_e32 v99, v131
	v_mad_u32_u24 v134, 0x7a8, v136, v124
	v_mad_u64_u32 v[124:125], null, s2, v129, 0
	v_mad_u64_u32 v[20:21], null, s3, v135, v[20:21]
	;; [unrolled: 1-line block ×3, first 2 shown]
	v_lshlrev_b64 v[98:99], 4, v[98:99]
	v_add_co_u32 v14, vcc_lo, v0, v14
	v_add_co_ci_u32_e32 v15, vcc_lo, v1, v15, vcc_lo
	v_mov_b32_e32 v133, v20
	v_mov_b32_e32 v20, v125
	;; [unrolled: 1-line block ×3, first 2 shown]
	v_add_co_u32 v98, vcc_lo, v0, v98
	v_lshlrev_b64 v[127:128], 4, v[132:133]
	v_add_co_ci_u32_e32 v99, vcc_lo, v1, v99, vcc_lo
	v_mad_u64_u32 v[129:130], null, s3, v129, v[20:21]
	v_mad_u64_u32 v[20:21], null, s3, v134, v[21:22]
	v_add_nc_u32_e32 v21, 0x188, v134
	v_add_co_u32 v130, vcc_lo, v0, v127
	v_add_co_ci_u32_e32 v131, vcc_lo, v1, v128, vcc_lo
	v_mad_u64_u32 v[132:133], null, s2, v21, 0
	global_store_dwordx4 v[14:15], v[120:123], off
	global_store_dwordx4 v[98:99], v[112:115], off
	v_add_nc_u32_e32 v112, 0xa8, v226
	global_store_dwordx4 v[130:131], v[108:111], off
	v_add_nc_u32_e32 v110, 0x310, v134
	v_mov_b32_e32 v125, v129
	v_mov_b32_e32 v127, v20
	v_mul_hi_u32 v111, 0x5397829d, v112
	v_mov_b32_e32 v20, v133
	v_mad_u64_u32 v[108:109], null, s2, v110, 0
	v_lshlrev_b64 v[14:15], 4, v[124:125]
	v_lshlrev_b64 v[98:99], 4, v[126:127]
	v_mad_u64_u32 v[20:21], null, s3, v21, v[20:21]
	v_lshrrev_b32_e32 v113, 7, v111
	v_add_nc_u32_e32 v114, 0x498, v134
	v_mov_b32_e32 v21, v109
	v_add_co_u32 v14, vcc_lo, v0, v14
	v_add_co_ci_u32_e32 v15, vcc_lo, v1, v15, vcc_lo
	v_mul_u32_u24_e32 v109, 0x188, v113
	v_mov_b32_e32 v133, v20
	v_mad_u64_u32 v[20:21], null, s3, v110, v[21:22]
	v_mad_u64_u32 v[110:111], null, s2, v114, 0
	v_add_co_u32 v98, vcc_lo, v0, v98
	v_add_co_ci_u32_e32 v99, vcc_lo, v1, v99, vcc_lo
	global_store_dwordx4 v[14:15], v[116:119], off
	v_sub_nc_u32_e32 v14, v112, v109
	v_add_nc_u32_e32 v112, 0x620, v134
	global_store_dwordx4 v[98:99], v[6:9], off
	v_mov_b32_e32 v8, v111
	v_mov_b32_e32 v109, v20
	v_mad_u32_u24 v113, 0x7a8, v113, v14
	v_mad_u64_u32 v[14:15], null, s2, v112, 0
	v_mad_u64_u32 v[8:9], null, s3, v114, v[8:9]
	v_lshlrev_b64 v[6:7], 4, v[132:133]
	v_lshlrev_b64 v[98:99], 4, v[108:109]
	v_mad_u64_u32 v[20:21], null, s2, v113, 0
	v_mov_b32_e32 v9, v15
	v_add_co_u32 v6, vcc_lo, v0, v6
	v_mov_b32_e32 v111, v8
	v_mad_u64_u32 v[8:9], null, s3, v112, v[9:10]
	v_add_co_ci_u32_e32 v7, vcc_lo, v1, v7, vcc_lo
	v_add_nc_u32_e32 v9, 0x188, v113
	v_add_co_u32 v98, vcc_lo, v0, v98
	v_add_co_ci_u32_e32 v99, vcc_lo, v1, v99, vcc_lo
	global_store_dwordx4 v[6:7], v[104:107], off
	v_mad_u64_u32 v[104:105], null, s2, v9, 0
	v_mov_b32_e32 v15, v21
	global_store_dwordx4 v[98:99], v[100:103], off
	v_add_nc_u32_e32 v100, 0x310, v113
	v_lshlrev_b64 v[6:7], 4, v[110:111]
	v_add_nc_u32_e32 v106, 0xe0, v226
	v_mad_u64_u32 v[108:109], null, s3, v113, v[15:16]
	v_mov_b32_e32 v15, v8
	v_mov_b32_e32 v8, v105
	v_mad_u64_u32 v[98:99], null, s2, v100, 0
	v_add_co_u32 v6, vcc_lo, v0, v6
	v_mad_u64_u32 v[8:9], null, s3, v9, v[8:9]
	v_mov_b32_e32 v21, v108
	v_lshlrev_b64 v[14:15], 4, v[14:15]
	v_mov_b32_e32 v9, v99
	v_add_co_ci_u32_e32 v7, vcc_lo, v1, v7, vcc_lo
	v_lshlrev_b64 v[20:21], 4, v[20:21]
	v_mov_b32_e32 v105, v8
	v_add_nc_u32_e32 v107, 0x498, v113
	v_mad_u64_u32 v[8:9], null, s3, v100, v[9:10]
	v_add_nc_u32_e32 v108, 0x620, v113
	v_add_co_u32 v14, vcc_lo, v0, v14
	v_mul_hi_u32 v9, 0x5397829d, v106
	v_add_co_ci_u32_e32 v15, vcc_lo, v1, v15, vcc_lo
	v_add_co_u32 v20, vcc_lo, v0, v20
	v_mad_u64_u32 v[100:101], null, s2, v107, 0
	v_mad_u64_u32 v[102:103], null, s2, v108, 0
	v_add_co_ci_u32_e32 v21, vcc_lo, v1, v21, vcc_lo
	global_store_dwordx4 v[6:7], v[90:93], off
	global_store_dwordx4 v[14:15], v[94:97], off
	;; [unrolled: 1-line block ×3, first 2 shown]
	v_lshrrev_b32_e32 v20, 7, v9
	v_mov_b32_e32 v9, v101
	v_mov_b32_e32 v99, v8
	;; [unrolled: 1-line block ×3, first 2 shown]
	v_lshlrev_b64 v[6:7], 4, v[104:105]
	v_mul_u32_u24_e32 v21, 0x188, v20
	v_mad_u64_u32 v[14:15], null, s3, v107, v[9:10]
	v_mad_u64_u32 v[8:9], null, s3, v108, v[8:9]
	v_sub_nc_u32_e32 v9, v106, v21
	v_add_co_u32 v6, vcc_lo, v0, v6
	v_add_co_ci_u32_e32 v7, vcc_lo, v1, v7, vcc_lo
	v_mad_u32_u24 v93, 0x7a8, v20, v9
	v_lshlrev_b64 v[20:21], 4, v[98:99]
	v_mov_b32_e32 v101, v14
	v_mov_b32_e32 v103, v8
	v_add_nc_u32_e32 v92, 0x188, v93
	v_mad_u64_u32 v[8:9], null, s2, v93, 0
	v_add_co_u32 v14, vcc_lo, v0, v20
	v_add_co_ci_u32_e32 v15, vcc_lo, v1, v21, vcc_lo
	v_lshlrev_b64 v[20:21], 4, v[100:101]
	v_mad_u64_u32 v[88:89], null, s2, v92, 0
	v_lshlrev_b64 v[86:87], 4, v[102:103]
	v_mad_u64_u32 v[90:91], null, s3, v93, v[9:10]
	v_add_co_u32 v20, vcc_lo, v0, v20
	v_add_co_ci_u32_e32 v21, vcc_lo, v1, v21, vcc_lo
	v_mov_b32_e32 v9, v89
	v_add_co_u32 v86, vcc_lo, v0, v86
	v_add_co_ci_u32_e32 v87, vcc_lo, v1, v87, vcc_lo
	v_mad_u64_u32 v[91:92], null, s3, v92, v[9:10]
	global_store_dwordx4 v[6:7], v[82:85], off
	global_store_dwordx4 v[14:15], v[16:19], off
	;; [unrolled: 1-line block ×4, first 2 shown]
	v_add_nc_u32_e32 v10, 0x310, v93
	v_add_nc_u32_e32 v13, 0x498, v93
	;; [unrolled: 1-line block ×3, first 2 shown]
	v_mov_b32_e32 v9, v90
	v_add_nc_u32_e32 v16, 0x620, v93
	v_mad_u64_u32 v[4:5], null, s2, v10, 0
	v_mad_u64_u32 v[6:7], null, s2, v13, 0
	v_mul_hi_u32 v11, 0x5397829d, v15
	v_mov_b32_e32 v89, v91
	v_lshlrev_b64 v[2:3], 4, v[8:9]
	v_lshlrev_b64 v[8:9], 4, v[88:89]
	v_lshrrev_b32_e32 v17, 7, v11
	v_mad_u64_u32 v[10:11], null, s3, v10, v[5:6]
	v_mov_b32_e32 v5, v7
	v_add_co_u32 v2, vcc_lo, v0, v2
	v_add_co_ci_u32_e32 v3, vcc_lo, v1, v3, vcc_lo
	v_mad_u64_u32 v[11:12], null, s2, v16, 0
	v_add_co_u32 v7, vcc_lo, v0, v8
	v_mul_u32_u24_e32 v18, 0x188, v17
	v_mad_u64_u32 v[13:14], null, s3, v13, v[5:6]
	v_mov_b32_e32 v5, v10
	v_add_co_ci_u32_e32 v8, vcc_lo, v1, v9, vcc_lo
	v_sub_nc_u32_e32 v9, v15, v18
	global_store_dwordx4 v[2:3], v[62:65], off
	global_store_dwordx4 v[7:8], v[78:81], off
	v_lshlrev_b64 v[3:4], 4, v[4:5]
	v_mov_b32_e32 v2, v12
	v_mad_u32_u24 v14, 0x7a8, v17, v9
	v_mov_b32_e32 v7, v13
	v_mad_u64_u32 v[8:9], null, s3, v16, v[2:3]
	v_mad_u64_u32 v[9:10], null, s2, v14, 0
	v_add_nc_u32_e32 v15, 0x188, v14
	v_add_co_u32 v2, vcc_lo, v0, v3
	v_add_co_ci_u32_e32 v3, vcc_lo, v1, v4, vcc_lo
	v_lshlrev_b64 v[4:5], 4, v[6:7]
	v_mov_b32_e32 v12, v8
	v_mad_u64_u32 v[7:8], null, s2, v15, 0
	v_mov_b32_e32 v6, v10
	v_add_nc_u32_e32 v16, 0x150, v226
	v_add_co_u32 v4, vcc_lo, v0, v4
	v_lshlrev_b64 v[10:11], 4, v[11:12]
	v_add_co_ci_u32_e32 v5, vcc_lo, v1, v5, vcc_lo
	v_mad_u64_u32 v[12:13], null, s3, v14, v[6:7]
	global_store_dwordx4 v[2:3], v[74:77], off
	global_store_dwordx4 v[4:5], v[70:73], off
	v_mov_b32_e32 v2, v8
	v_add_co_u32 v3, vcc_lo, v0, v10
	v_add_co_ci_u32_e32 v4, vcc_lo, v1, v11, vcc_lo
	v_mov_b32_e32 v10, v12
	v_mad_u64_u32 v[5:6], null, s3, v15, v[2:3]
	v_add_nc_u32_e32 v13, 0x310, v14
	v_add_nc_u32_e32 v15, 0x498, v14
	global_store_dwordx4 v[3:4], v[66:69], off
	v_lshlrev_b64 v[2:3], 4, v[9:10]
	v_add_nc_u32_e32 v17, 0x620, v14
	v_mad_u64_u32 v[9:10], null, s2, v13, 0
	v_mov_b32_e32 v8, v5
	v_mad_u64_u32 v[11:12], null, s2, v15, 0
	v_add_co_u32 v2, vcc_lo, v0, v2
	v_lshlrev_b64 v[5:6], 4, v[7:8]
	v_mov_b32_e32 v4, v10
	v_add_co_ci_u32_e32 v3, vcc_lo, v1, v3, vcc_lo
	v_mov_b32_e32 v7, v12
	v_mad_u64_u32 v[12:13], null, s3, v13, v[4:5]
	v_mad_u64_u32 v[13:14], null, s2, v17, 0
	;; [unrolled: 1-line block ×3, first 2 shown]
	v_mul_hi_u32 v8, 0x5397829d, v16
	v_add_co_u32 v4, vcc_lo, v0, v5
	v_add_co_ci_u32_e32 v5, vcc_lo, v1, v6, vcc_lo
	v_mov_b32_e32 v10, v12
	global_store_dwordx4 v[2:3], v[42:45], off
	v_mov_b32_e32 v2, v14
	v_lshrrev_b32_e32 v15, 7, v8
	global_store_dwordx4 v[4:5], v[58:61], off
	v_lshlrev_b64 v[3:4], 4, v[9:10]
	v_mov_b32_e32 v12, v7
	v_mul_u32_u24_e32 v14, 0x188, v15
	v_mad_u64_u32 v[7:8], null, s3, v17, v[2:3]
	v_sub_nc_u32_e32 v8, v16, v14
	v_lshlrev_b64 v[5:6], 4, v[11:12]
	v_add_co_u32 v2, vcc_lo, v0, v3
	v_add_co_ci_u32_e32 v3, vcc_lo, v1, v4, vcc_lo
	v_mad_u32_u24 v15, 0x7a8, v15, v8
	v_mov_b32_e32 v14, v7
	v_add_co_u32 v4, vcc_lo, v0, v5
	global_store_dwordx4 v[2:3], v[54:57], off
	v_add_co_ci_u32_e32 v5, vcc_lo, v1, v6, vcc_lo
	v_lshlrev_b64 v[2:3], 4, v[13:14]
	v_add_nc_u32_e32 v14, 0x310, v15
	v_add_nc_u32_e32 v12, 0x188, v15
	v_mad_u64_u32 v[6:7], null, s2, v15, 0
	global_store_dwordx4 v[4:5], v[50:53], off
	v_mad_u64_u32 v[8:9], null, s2, v14, 0
	v_mad_u64_u32 v[4:5], null, s2, v12, 0
	v_add_nc_u32_e32 v17, 0x498, v15
	v_add_co_u32 v2, vcc_lo, v0, v2
	v_add_nc_u32_e32 v18, 0x620, v15
	v_mad_u64_u32 v[10:11], null, s3, v15, v[7:8]
	v_mad_u64_u32 v[11:12], null, s3, v12, v[5:6]
	v_mov_b32_e32 v5, v9
	v_mad_u64_u32 v[12:13], null, s2, v17, 0
	v_add_co_ci_u32_e32 v3, vcc_lo, v1, v3, vcc_lo
	v_mad_u64_u32 v[14:15], null, s3, v14, v[5:6]
	v_mad_u64_u32 v[15:16], null, s2, v18, 0
	global_store_dwordx4 v[2:3], v[46:49], off
	v_mov_b32_e32 v2, v13
	v_mov_b32_e32 v5, v11
	;; [unrolled: 1-line block ×4, first 2 shown]
	v_mad_u64_u32 v[2:3], null, s3, v17, v[2:3]
	v_lshlrev_b64 v[4:5], 4, v[4:5]
	v_mov_b32_e32 v3, v16
	v_lshlrev_b64 v[6:7], 4, v[6:7]
	v_lshlrev_b64 v[8:9], 4, v[8:9]
	v_mad_u64_u32 v[10:11], null, s3, v18, v[3:4]
	v_add_co_u32 v6, vcc_lo, v0, v6
	v_mov_b32_e32 v13, v2
	v_add_co_ci_u32_e32 v7, vcc_lo, v1, v7, vcc_lo
	v_add_co_u32 v2, vcc_lo, v0, v4
	v_mov_b32_e32 v16, v10
	v_add_co_ci_u32_e32 v3, vcc_lo, v1, v5, vcc_lo
	v_lshlrev_b64 v[4:5], 4, v[12:13]
	v_add_co_u32 v8, vcc_lo, v0, v8
	v_lshlrev_b64 v[10:11], 4, v[15:16]
	v_add_co_ci_u32_e32 v9, vcc_lo, v1, v9, vcc_lo
	v_add_co_u32 v4, vcc_lo, v0, v4
	v_add_co_ci_u32_e32 v5, vcc_lo, v1, v5, vcc_lo
	v_add_co_u32 v0, vcc_lo, v0, v10
	v_add_co_ci_u32_e32 v1, vcc_lo, v1, v11, vcc_lo
	global_store_dwordx4 v[6:7], v[22:25], off
	global_store_dwordx4 v[2:3], v[38:41], off
	;; [unrolled: 1-line block ×5, first 2 shown]
.LBB0_29:
	s_endpgm
	.section	.rodata,"a",@progbits
	.p2align	6, 0x0
	.amdhsa_kernel fft_rtc_fwd_len1960_factors_4_7_2_7_5_wgs_56_tpt_56_halfLds_dp_op_CI_CI_sbrr_dirReg
		.amdhsa_group_segment_fixed_size 0
		.amdhsa_private_segment_fixed_size 152
		.amdhsa_kernarg_size 104
		.amdhsa_user_sgpr_count 6
		.amdhsa_user_sgpr_private_segment_buffer 1
		.amdhsa_user_sgpr_dispatch_ptr 0
		.amdhsa_user_sgpr_queue_ptr 0
		.amdhsa_user_sgpr_kernarg_segment_ptr 1
		.amdhsa_user_sgpr_dispatch_id 0
		.amdhsa_user_sgpr_flat_scratch_init 0
		.amdhsa_user_sgpr_private_segment_size 0
		.amdhsa_wavefront_size32 1
		.amdhsa_uses_dynamic_stack 0
		.amdhsa_system_sgpr_private_segment_wavefront_offset 1
		.amdhsa_system_sgpr_workgroup_id_x 1
		.amdhsa_system_sgpr_workgroup_id_y 0
		.amdhsa_system_sgpr_workgroup_id_z 0
		.amdhsa_system_sgpr_workgroup_info 0
		.amdhsa_system_vgpr_workitem_id 0
		.amdhsa_next_free_vgpr 256
		.amdhsa_next_free_sgpr 40
		.amdhsa_reserve_vcc 1
		.amdhsa_reserve_flat_scratch 0
		.amdhsa_float_round_mode_32 0
		.amdhsa_float_round_mode_16_64 0
		.amdhsa_float_denorm_mode_32 3
		.amdhsa_float_denorm_mode_16_64 3
		.amdhsa_dx10_clamp 1
		.amdhsa_ieee_mode 1
		.amdhsa_fp16_overflow 0
		.amdhsa_workgroup_processor_mode 1
		.amdhsa_memory_ordered 1
		.amdhsa_forward_progress 0
		.amdhsa_shared_vgpr_count 0
		.amdhsa_exception_fp_ieee_invalid_op 0
		.amdhsa_exception_fp_denorm_src 0
		.amdhsa_exception_fp_ieee_div_zero 0
		.amdhsa_exception_fp_ieee_overflow 0
		.amdhsa_exception_fp_ieee_underflow 0
		.amdhsa_exception_fp_ieee_inexact 0
		.amdhsa_exception_int_div_zero 0
	.end_amdhsa_kernel
	.text
.Lfunc_end0:
	.size	fft_rtc_fwd_len1960_factors_4_7_2_7_5_wgs_56_tpt_56_halfLds_dp_op_CI_CI_sbrr_dirReg, .Lfunc_end0-fft_rtc_fwd_len1960_factors_4_7_2_7_5_wgs_56_tpt_56_halfLds_dp_op_CI_CI_sbrr_dirReg
                                        ; -- End function
	.section	.AMDGPU.csdata,"",@progbits
; Kernel info:
; codeLenInByte = 29132
; NumSgprs: 42
; NumVgprs: 256
; ScratchSize: 152
; MemoryBound: 1
; FloatMode: 240
; IeeeMode: 1
; LDSByteSize: 0 bytes/workgroup (compile time only)
; SGPRBlocks: 5
; VGPRBlocks: 31
; NumSGPRsForWavesPerEU: 42
; NumVGPRsForWavesPerEU: 256
; Occupancy: 4
; WaveLimiterHint : 1
; COMPUTE_PGM_RSRC2:SCRATCH_EN: 1
; COMPUTE_PGM_RSRC2:USER_SGPR: 6
; COMPUTE_PGM_RSRC2:TRAP_HANDLER: 0
; COMPUTE_PGM_RSRC2:TGID_X_EN: 1
; COMPUTE_PGM_RSRC2:TGID_Y_EN: 0
; COMPUTE_PGM_RSRC2:TGID_Z_EN: 0
; COMPUTE_PGM_RSRC2:TIDIG_COMP_CNT: 0
	.text
	.p2alignl 6, 3214868480
	.fill 48, 4, 3214868480
	.type	__hip_cuid_76d20246246ed2b2,@object ; @__hip_cuid_76d20246246ed2b2
	.section	.bss,"aw",@nobits
	.globl	__hip_cuid_76d20246246ed2b2
__hip_cuid_76d20246246ed2b2:
	.byte	0                               ; 0x0
	.size	__hip_cuid_76d20246246ed2b2, 1

	.ident	"AMD clang version 19.0.0git (https://github.com/RadeonOpenCompute/llvm-project roc-6.4.0 25133 c7fe45cf4b819c5991fe208aaa96edf142730f1d)"
	.section	".note.GNU-stack","",@progbits
	.addrsig
	.addrsig_sym __hip_cuid_76d20246246ed2b2
	.amdgpu_metadata
---
amdhsa.kernels:
  - .args:
      - .actual_access:  read_only
        .address_space:  global
        .offset:         0
        .size:           8
        .value_kind:     global_buffer
      - .offset:         8
        .size:           8
        .value_kind:     by_value
      - .actual_access:  read_only
        .address_space:  global
        .offset:         16
        .size:           8
        .value_kind:     global_buffer
      - .actual_access:  read_only
        .address_space:  global
        .offset:         24
        .size:           8
        .value_kind:     global_buffer
      - .actual_access:  read_only
        .address_space:  global
        .offset:         32
        .size:           8
        .value_kind:     global_buffer
      - .offset:         40
        .size:           8
        .value_kind:     by_value
      - .actual_access:  read_only
        .address_space:  global
        .offset:         48
        .size:           8
        .value_kind:     global_buffer
      - .actual_access:  read_only
        .address_space:  global
        .offset:         56
        .size:           8
        .value_kind:     global_buffer
      - .offset:         64
        .size:           4
        .value_kind:     by_value
      - .actual_access:  read_only
        .address_space:  global
        .offset:         72
        .size:           8
        .value_kind:     global_buffer
      - .actual_access:  read_only
        .address_space:  global
        .offset:         80
        .size:           8
        .value_kind:     global_buffer
      - .actual_access:  read_only
        .address_space:  global
        .offset:         88
        .size:           8
        .value_kind:     global_buffer
      - .actual_access:  write_only
        .address_space:  global
        .offset:         96
        .size:           8
        .value_kind:     global_buffer
    .group_segment_fixed_size: 0
    .kernarg_segment_align: 8
    .kernarg_segment_size: 104
    .language:       OpenCL C
    .language_version:
      - 2
      - 0
    .max_flat_workgroup_size: 56
    .name:           fft_rtc_fwd_len1960_factors_4_7_2_7_5_wgs_56_tpt_56_halfLds_dp_op_CI_CI_sbrr_dirReg
    .private_segment_fixed_size: 152
    .sgpr_count:     42
    .sgpr_spill_count: 0
    .symbol:         fft_rtc_fwd_len1960_factors_4_7_2_7_5_wgs_56_tpt_56_halfLds_dp_op_CI_CI_sbrr_dirReg.kd
    .uniform_work_group_size: 1
    .uses_dynamic_stack: false
    .vgpr_count:     256
    .vgpr_spill_count: 60
    .wavefront_size: 32
    .workgroup_processor_mode: 1
amdhsa.target:   amdgcn-amd-amdhsa--gfx1030
amdhsa.version:
  - 1
  - 2
...

	.end_amdgpu_metadata
